;; amdgpu-corpus repo=ROCm/rocFFT kind=compiled arch=gfx950 opt=O3
	.text
	.amdgcn_target "amdgcn-amd-amdhsa--gfx950"
	.amdhsa_code_object_version 6
	.protected	bluestein_single_fwd_len567_dim1_sp_op_CI_CI ; -- Begin function bluestein_single_fwd_len567_dim1_sp_op_CI_CI
	.globl	bluestein_single_fwd_len567_dim1_sp_op_CI_CI
	.p2align	8
	.type	bluestein_single_fwd_len567_dim1_sp_op_CI_CI,@function
bluestein_single_fwd_len567_dim1_sp_op_CI_CI: ; @bluestein_single_fwd_len567_dim1_sp_op_CI_CI
; %bb.0:
	s_load_dwordx4 s[8:11], s[0:1], 0x28
	v_mul_u32_u24_e32 v1, 0x411, v0
	v_mov_b32_e32 v63, 0
	v_add_u32_sdwa v70, s2, v1 dst_sel:DWORD dst_unused:UNUSED_PAD src0_sel:DWORD src1_sel:WORD_1
	v_mov_b32_e32 v71, v63
	s_waitcnt lgkmcnt(0)
	v_cmp_gt_u64_e32 vcc, s[8:9], v[70:71]
	s_and_saveexec_b64 s[2:3], vcc
	s_cbranch_execz .LBB0_15
; %bb.1:
	s_load_dwordx4 s[4:7], s[0:1], 0x18
	s_load_dwordx2 s[12:13], s[0:1], 0x0
	v_mov_b32_e32 v2, s10
	v_mov_b32_e32 v3, s11
	;; [unrolled: 1-line block ×3, first 2 shown]
	s_waitcnt lgkmcnt(0)
	s_load_dwordx4 s[8:11], s[4:5], 0x0
	v_mul_lo_u16_sdwa v1, v1, v4 dst_sel:DWORD dst_unused:UNUSED_PAD src0_sel:WORD_1 src1_sel:DWORD
	v_sub_u16_e32 v62, v0, v1
	v_lshlrev_b32_e32 v58, 3, v62
	global_load_dwordx2 v[78:79], v58, s[12:13]
	s_waitcnt lgkmcnt(0)
	v_mad_u64_u32 v[0:1], s[2:3], s10, v70, 0
	v_mov_b32_e32 v4, v1
	v_mad_u64_u32 v[4:5], s[2:3], s11, v70, v[4:5]
	v_mov_b32_e32 v1, v4
	v_mad_u64_u32 v[4:5], s[2:3], s8, v62, 0
	v_mov_b32_e32 v6, v5
	v_mad_u64_u32 v[6:7], s[2:3], s9, v62, v[6:7]
	s_mul_i32 s2, s9, 0x51
	s_mul_hi_u32 s3, s8, 0x51
	v_mov_b32_e32 v5, v6
	v_lshl_add_u64 v[0:1], v[0:1], 3, v[2:3]
	s_add_i32 s3, s3, s2
	s_mul_i32 s2, s8, 0x51
	v_lshl_add_u64 v[0:1], v[4:5], 3, v[0:1]
	s_lshl_b64 s[14:15], s[2:3], 3
	global_load_dwordx2 v[4:5], v[0:1], off
	v_lshl_add_u64 v[0:1], v[0:1], 0, s[14:15]
	global_load_dwordx2 v[6:7], v[0:1], off
	global_load_dwordx2 v[76:77], v58, s[12:13] offset:648
	v_lshl_add_u64 v[0:1], v[0:1], 0, s[14:15]
	global_load_dwordx2 v[74:75], v58, s[12:13] offset:1296
	global_load_dwordx2 v[8:9], v[0:1], off
	v_lshl_add_u64 v[0:1], v[0:1], 0, s[14:15]
	global_load_dwordx2 v[10:11], v[0:1], off
	global_load_dwordx2 v[72:73], v58, s[12:13] offset:1944
	v_lshl_add_u64 v[0:1], v[0:1], 0, s[14:15]
	global_load_dwordx2 v[12:13], v[0:1], off
	global_load_dwordx2 v[68:69], v58, s[12:13] offset:2592
	;; [unrolled: 3-line block ×3, first 2 shown]
	v_lshl_add_u64 v[0:1], v[0:1], 0, s[14:15]
	global_load_dwordx2 v[64:65], v58, s[12:13] offset:3888
	global_load_dwordx2 v[16:17], v[0:1], off
	s_load_dwordx2 s[10:11], s[0:1], 0x38
	v_mov_b32_e32 v59, v63
	s_load_dwordx4 s[4:7], s[6:7], 0x0
	v_add_u32_e32 v2, 0x800, v58
	v_lshl_add_u64 v[60:61], s[12:13], 0, v[58:59]
	v_cmp_gt_u16_e64 s[2:3], 18, v62
	s_waitcnt vmcnt(12)
	v_mul_f32_e32 v3, v4, v79
	v_mul_f32_e32 v18, v5, v79
	v_fma_f32 v19, v5, v78, -v3
	s_waitcnt vmcnt(10)
	v_mul_f32_e32 v3, v6, v77
	v_fmac_f32_e32 v18, v4, v78
	v_mul_f32_e32 v4, v7, v77
	v_fma_f32 v5, v7, v76, -v3
	s_waitcnt vmcnt(8)
	v_mul_f32_e32 v3, v8, v75
	v_fmac_f32_e32 v4, v6, v76
	v_fma_f32 v7, v9, v74, -v3
	s_waitcnt vmcnt(6)
	v_mul_f32_e32 v3, v10, v73
	v_mul_f32_e32 v6, v9, v75
	ds_write2_b64 v58, v[18:19], v[4:5] offset1:81
	v_mul_f32_e32 v4, v11, v73
	v_fma_f32 v5, v11, v72, -v3
	s_waitcnt vmcnt(4)
	v_mul_f32_e32 v3, v12, v69
	v_fmac_f32_e32 v6, v8, v74
	v_fmac_f32_e32 v4, v10, v72
	v_fma_f32 v9, v13, v68, -v3
	s_waitcnt vmcnt(2)
	v_mul_f32_e32 v3, v14, v67
	v_mul_f32_e32 v8, v13, v69
	ds_write2_b64 v58, v[6:7], v[4:5] offset0:162 offset1:243
	v_mul_f32_e32 v4, v15, v67
	v_fma_f32 v5, v15, v66, -v3
	s_waitcnt vmcnt(0)
	v_mul_f32_e32 v6, v17, v65
	v_mul_f32_e32 v3, v16, v65
	v_fmac_f32_e32 v8, v12, v68
	v_fmac_f32_e32 v4, v14, v66
	;; [unrolled: 1-line block ×3, first 2 shown]
	v_fma_f32 v7, v17, v64, -v3
	ds_write2_b64 v2, v[8:9], v[4:5] offset0:68 offset1:149
	ds_write_b64 v58, v[6:7] offset:3888
	s_and_saveexec_b64 s[16:17], s[2:3]
	s_cbranch_execz .LBB0_3
; %bb.2:
	v_mov_b32_e32 v3, 0xfffff2c8
	s_mulk_i32 s9, 0xf2c8
	v_mad_u64_u32 v[0:1], s[18:19], s8, v3, v[0:1]
	s_sub_i32 s8, s9, s8
	v_add_u32_e32 v1, s8, v1
	global_load_dwordx2 v[4:5], v[0:1], off
	global_load_dwordx2 v[6:7], v[60:61], off offset:504
	v_lshl_add_u64 v[0:1], v[0:1], 0, s[14:15]
	global_load_dwordx2 v[8:9], v[0:1], off
	global_load_dwordx2 v[10:11], v[60:61], off offset:1152
	v_lshl_add_u64 v[0:1], v[0:1], 0, s[14:15]
	;; [unrolled: 3-line block ×4, first 2 shown]
	v_add_co_u32_e32 v28, vcc, 0x1000, v60
	global_load_dwordx2 v[20:21], v[0:1], off
	v_lshl_add_u64 v[0:1], v[0:1], 0, s[14:15]
	v_addc_co_u32_e32 v29, vcc, 0, v61, vcc
	global_load_dwordx2 v[22:23], v[0:1], off
	global_load_dwordx2 v[24:25], v[60:61], off offset:3096
	global_load_dwordx2 v[26:27], v[60:61], off offset:3744
	v_lshl_add_u64 v[0:1], v[0:1], 0, s[14:15]
	global_load_dwordx2 v[30:31], v[28:29], off offset:296
	global_load_dwordx2 v[32:33], v[0:1], off
	v_add_u32_e32 v3, 0x400, v58
	s_waitcnt vmcnt(12)
	v_mul_f32_e32 v0, v5, v7
	v_mul_f32_e32 v1, v4, v7
	v_fmac_f32_e32 v0, v4, v6
	v_fma_f32 v1, v5, v6, -v1
	s_waitcnt vmcnt(10)
	v_mul_f32_e32 v4, v9, v11
	v_mul_f32_e32 v5, v8, v11
	v_fmac_f32_e32 v4, v8, v10
	v_fma_f32 v5, v9, v10, -v5
	s_waitcnt vmcnt(8)
	v_mul_f32_e32 v6, v13, v15
	v_mul_f32_e32 v7, v12, v15
	ds_write2_b64 v58, v[0:1], v[4:5] offset0:63 offset1:144
	s_waitcnt vmcnt(6)
	v_mul_f32_e32 v0, v17, v19
	v_mul_f32_e32 v1, v16, v19
	v_fmac_f32_e32 v6, v12, v14
	v_fma_f32 v7, v13, v14, -v7
	v_fmac_f32_e32 v0, v16, v18
	v_fma_f32 v1, v17, v18, -v1
	s_waitcnt vmcnt(3)
	v_mul_f32_e32 v4, v21, v25
	v_mul_f32_e32 v5, v20, v25
	ds_write2_b64 v3, v[6:7], v[0:1] offset0:97 offset1:178
	s_waitcnt vmcnt(2)
	v_mul_f32_e32 v0, v23, v27
	v_mul_f32_e32 v1, v22, v27
	s_waitcnt vmcnt(0)
	v_mul_f32_e32 v6, v33, v31
	v_mul_f32_e32 v3, v32, v31
	v_fmac_f32_e32 v4, v20, v24
	v_fma_f32 v5, v21, v24, -v5
	v_fmac_f32_e32 v0, v22, v26
	v_fma_f32 v1, v23, v26, -v1
	;; [unrolled: 2-line block ×3, first 2 shown]
	ds_write2_b64 v2, v[4:5], v[0:1] offset0:131 offset1:212
	ds_write_b64 v58, v[6:7] offset:4392
.LBB0_3:
	s_or_b64 exec, exec, s[16:17]
	s_waitcnt lgkmcnt(0)
	; wave barrier
	s_waitcnt lgkmcnt(0)
	ds_read2_b64 v[12:15], v58 offset1:81
	ds_read2_b64 v[8:11], v58 offset0:162 offset1:243
	ds_read2_b64 v[16:19], v2 offset0:68 offset1:149
	ds_read_b64 v[24:25], v58 offset:3888
	s_load_dwordx2 s[0:1], s[0:1], 0x8
	v_mov_b64_e32 v[0:1], 0
	v_mov_b32_e32 v2, 0
	v_mov_b32_e32 v3, 0
	;; [unrolled: 1-line block ×6, first 2 shown]
                                        ; implicit-def: $vgpr26
	s_and_saveexec_b64 s[8:9], s[2:3]
	s_cbranch_execz .LBB0_5
; %bb.4:
	v_add_u32_e32 v4, 0x400, v58
	v_add_u32_e32 v20, 0x800, v58
	ds_read2_b64 v[0:3], v58 offset0:63 offset1:144
	ds_read2_b64 v[4:7], v4 offset0:97 offset1:178
	;; [unrolled: 1-line block ×3, first 2 shown]
	ds_read_b64 v[26:27], v58 offset:4392
.LBB0_5:
	s_or_b64 exec, exec, s[8:9]
	s_waitcnt lgkmcnt(0)
	v_pk_add_f32 v[36:37], v[26:27], v[2:3]
	v_pk_add_f32 v[2:3], v[2:3], v[26:27] neg_lo:[0,1] neg_hi:[0,1]
	v_pk_add_f32 v[26:27], v[22:23], v[4:5]
	v_pk_add_f32 v[4:5], v[4:5], v[22:23] neg_lo:[0,1] neg_hi:[0,1]
	;; [unrolled: 2-line block ×4, first 2 shown]
	v_pk_add_f32 v[36:37], v[36:37], v[22:23] neg_lo:[0,1] neg_hi:[0,1]
	v_pk_add_f32 v[26:27], v[22:23], v[26:27] neg_lo:[0,1] neg_hi:[0,1]
	v_pk_add_f32 v[40:41], v[4:5], v[6:7] op_sel:[1,1] op_sel_hi:[0,0]
	v_pk_add_f32 v[42:43], v[6:7], v[4:5] op_sel:[1,1] op_sel_hi:[0,0] neg_lo:[0,1] neg_hi:[0,1]
	v_pk_add_f32 v[22:23], v[20:21], v[22:23]
	s_mov_b32 s20, 0x3f4a47b2
	s_mov_b32 s22, 0x3d64c772
	;; [unrolled: 1-line block ×3, first 2 shown]
	v_pk_add_f32 v[6:7], v[2:3], v[6:7] op_sel:[1,1] op_sel_hi:[0,0] neg_lo:[0,1] neg_hi:[0,1]
	v_pk_add_f32 v[4:5], v[4:5], v[2:3] op_sel:[1,1] op_sel_hi:[0,0] neg_lo:[0,1] neg_hi:[0,1]
	v_pk_add_f32 v[2:3], v[2:3], v[40:41] op_sel:[1,0] op_sel_hi:[0,1]
	v_pk_add_f32 v[20:21], v[22:23], v[0:1]
	s_mov_b32 s18, 0x3f955555
	v_pk_mul_f32 v[0:1], v[36:37], s[20:21] op_sel_hi:[1,0]
	v_pk_mul_f32 v[36:37], v[26:27], s[22:23] op_sel_hi:[1,0]
	s_mov_b32 s14, 0x3f3bfb3b
	v_pk_mul_f32 v[40:41], v[42:43], s[26:27] op_sel_hi:[1,0]
	s_mov_b32 s16, 0x3f5ff5aa
	s_mov_b32 s8, 0x3ee1c552
	;; [unrolled: 1-line block ×3, first 2 shown]
	v_pk_mul_f32 v[42:43], v[4:5], s[16:17] op_sel_hi:[1,0]
	v_pk_fma_f32 v[22:23], v[22:23], s[18:19], v[20:21] op_sel_hi:[1,0,1] neg_lo:[1,0,0] neg_hi:[1,0,0]
	v_pk_fma_f32 v[36:37], v[38:39], s[14:15], v[36:37] op_sel_hi:[1,0,1] neg_lo:[0,0,1] neg_hi:[0,0,1]
	;; [unrolled: 1-line block ×3, first 2 shown]
	v_pk_add_f32 v[28:29], v[14:15], v[24:25]
	v_pk_add_f32 v[30:31], v[8:9], v[18:19]
	;; [unrolled: 1-line block ×3, first 2 shown]
	v_pk_fma_f32 v[26:27], v[26:27], s[22:23], v[0:1] op_sel_hi:[1,0,1]
	v_pk_fma_f32 v[0:1], v[38:39], s[14:15], v[0:1] op_sel_hi:[1,0,1] neg_lo:[1,0,1] neg_hi:[1,0,1]
	v_pk_fma_f32 v[38:39], v[6:7], s[24:25], v[40:41] op_sel_hi:[1,0,1]
	v_pk_fma_f32 v[6:7], v[6:7], s[24:25], v[42:43] op_sel_hi:[1,0,1] neg_lo:[1,0,1] neg_hi:[1,0,1]
	v_pk_add_f32 v[36:37], v[36:37], v[22:23]
	v_pk_fma_f32 v[4:5], v[2:3], s[8:9], v[4:5] op_sel_hi:[1,0,1]
	v_pk_add_f32 v[0:1], v[0:1], v[22:23]
	v_pk_fma_f32 v[38:39], v[2:3], s[8:9], v[38:39] op_sel_hi:[1,0,1]
	v_pk_fma_f32 v[2:3], v[2:3], s[8:9], v[6:7] op_sel_hi:[1,0,1]
	v_pk_add_f32 v[40:41], v[36:37], v[4:5] neg_lo:[0,1] neg_hi:[0,1]
	v_pk_add_f32 v[4:5], v[36:37], v[4:5]
	v_pk_add_f32 v[36:37], v[30:31], v[28:29]
	v_pk_add_f32 v[8:9], v[8:9], v[18:19] neg_lo:[0,1] neg_hi:[0,1]
	v_pk_add_f32 v[10:11], v[16:17], v[10:11] neg_lo:[0,1] neg_hi:[0,1]
	v_mov_b32_e32 v16, v32
	v_mov_b32_e32 v17, v29
	;; [unrolled: 1-line block ×4, first 2 shown]
	v_pk_add_f32 v[26:27], v[26:27], v[22:23]
	v_pk_add_f32 v[22:23], v[0:1], v[2:3]
	v_pk_add_f32 v[6:7], v[0:1], v[2:3] neg_lo:[0,1] neg_hi:[0,1]
	v_pk_add_f32 v[36:37], v[32:33], v[36:37]
	v_pk_add_f32 v[14:15], v[14:15], v[24:25] neg_lo:[0,1] neg_hi:[0,1]
	v_pk_add_f32 v[16:17], v[16:17], v[18:19] neg_lo:[0,1] neg_hi:[0,1]
	v_mov_b32_e32 v18, v28
	v_mov_b32_e32 v33, v31
	;; [unrolled: 1-line block ×5, first 2 shown]
	v_pk_add_f32 v[22:23], v[26:27], v[38:39] neg_lo:[0,1] neg_hi:[0,1]
	v_pk_add_f32 v[26:27], v[26:27], v[38:39]
	v_pk_add_f32 v[18:19], v[18:19], v[32:33] neg_lo:[0,1] neg_hi:[0,1]
	v_mov_b32_e32 v32, v11
	v_mov_b32_e32 v33, v14
	;; [unrolled: 1-line block ×4, first 2 shown]
	v_pk_add_f32 v[24:25], v[10:11], v[8:9]
	v_pk_add_f32 v[32:33], v[32:33], v[38:39] neg_lo:[0,1] neg_hi:[0,1]
	v_mov_b32_e32 v38, v15
	v_mov_b32_e32 v10, v11
	;; [unrolled: 1-line block ×3, first 2 shown]
	s_mov_b32 s23, s20
	s_mov_b32 s27, s24
	v_pk_add_f32 v[12:13], v[12:13], v[36:37]
	v_pk_add_f32 v[10:11], v[38:39], v[10:11] neg_lo:[0,1] neg_hi:[0,1]
	v_pk_add_f32 v[24:25], v[24:25], v[14:15]
	v_pk_mul_f32 v[16:17], v[16:17], s[22:23]
	s_mov_b32 s21, s22
	s_mov_b32 s25, s26
	v_pk_mul_f32 v[32:33], v[32:33], s[26:27]
	v_mov_b32_e32 v2, v40
	v_mov_b32_e32 v3, v5
	;; [unrolled: 1-line block ×3, first 2 shown]
	v_pk_mul_f32 v[38:39], v[18:19], s[20:21]
	v_pk_mul_f32 v[40:41], v[24:25], s[8:9] op_sel_hi:[1,0]
	v_pk_mul_f32 v[42:43], v[10:11], s[24:25]
	v_pk_fma_f32 v[18:19], v[18:19], s[20:21], v[16:17]
	v_pk_fma_f32 v[10:11], v[10:11], s[24:25], v[32:33]
	v_pk_fma_f32 v[36:37], v[36:37], s[18:19], v[12:13] op_sel_hi:[1,0,1] neg_lo:[1,0,0] neg_hi:[1,0,0]
	v_pk_add_f32 v[10:11], v[40:41], v[10:11] op_sel:[1,0] op_sel_hi:[0,1]
	v_pk_add_f32 v[18:19], v[18:19], v[36:37]
	v_mov_b32_e32 v80, v22
	v_mul_lo_u16_e32 v22, 7, v62
	v_pk_add_f32 v[40:41], v[18:19], v[10:11]
	v_pk_add_f32 v[10:11], v[18:19], v[10:11] neg_lo:[0,1] neg_hi:[0,1]
	v_lshlrev_b32_e32 v59, 3, v22
	v_mov_b32_e32 v18, v40
	v_mov_b32_e32 v19, v11
	s_waitcnt lgkmcnt(0)
	; wave barrier
	ds_write2_b64 v59, v[12:13], v[18:19] offset1:1
	v_pk_add_f32 v[12:13], v[30:31], v[28:29] neg_lo:[0,1] neg_hi:[0,1]
	v_pk_add_f32 v[8:9], v[8:9], v[14:15] neg_lo:[0,1] neg_hi:[0,1]
	v_mov_b32_e32 v14, v38
	v_mov_b32_e32 v15, v17
	;; [unrolled: 1-line block ×3, first 2 shown]
	v_pk_fma_f32 v[14:15], v[12:13], s[14:15], v[14:15] op_sel_hi:[1,0,1] neg_lo:[1,0,1] neg_hi:[1,0,1]
	v_mov_b32_e32 v18, v33
	v_mov_b32_e32 v19, v42
	v_pk_fma_f32 v[12:13], v[12:13], s[14:15], v[16:17] op_sel_hi:[1,0,1] neg_lo:[0,0,1] neg_hi:[0,0,1]
	v_mov_b32_e32 v16, v43
	v_mov_b32_e32 v17, v32
	v_pk_fma_f32 v[18:19], v[8:9], s[16:17], v[18:19] op_sel_hi:[1,0,1] neg_lo:[1,0,1] neg_hi:[1,0,1]
	v_pk_fma_f32 v[8:9], v[8:9], s[16:17], v[16:17] op_sel_hi:[1,0,1] neg_lo:[0,0,1] neg_hi:[0,0,1]
	v_pk_fma_f32 v[18:19], v[24:25], s[8:9], v[18:19] op_sel_hi:[1,0,1]
	v_pk_add_f32 v[14:15], v[14:15], v[36:37]
	v_pk_fma_f32 v[8:9], v[24:25], s[8:9], v[8:9] op_sel_hi:[1,0,1]
	v_pk_add_f32 v[12:13], v[12:13], v[36:37]
	v_lshl_add_u64 v[34:35], v[62:63], 0, 63
	v_pk_add_f32 v[28:29], v[14:15], v[18:19] op_sel:[0,1] op_sel_hi:[1,0]
	v_pk_add_f32 v[14:15], v[14:15], v[18:19] op_sel:[0,1] op_sel_hi:[1,0] neg_lo:[0,1] neg_hi:[0,1]
	v_pk_add_f32 v[16:17], v[12:13], v[8:9] op_sel:[0,1] op_sel_hi:[1,0] neg_lo:[0,1] neg_hi:[0,1]
	v_pk_add_f32 v[8:9], v[12:13], v[8:9] op_sel:[0,1] op_sel_hi:[1,0]
	v_mov_b32_e32 v81, v27
	v_mov_b32_e32 v12, v28
	;; [unrolled: 1-line block ×8, first 2 shown]
	v_mul_u32_u24_e32 v71, 7, v34
	ds_write2_b64 v59, v[12:13], v[18:19] offset0:2 offset1:3
	ds_write2_b64 v59, v[8:9], v[14:15] offset0:4 offset1:5
	ds_write_b64 v59, v[10:11] offset:48
	s_and_saveexec_b64 s[8:9], s[2:3]
	s_cbranch_execz .LBB0_7
; %bb.6:
	v_lshlrev_b32_e32 v8, 3, v71
	v_mov_b32_e32 v27, v23
	ds_write2_b64 v8, v[20:21], v[26:27] offset1:1
	ds_write2_b64 v8, v[0:1], v[2:3] offset0:2 offset1:3
	ds_write2_b64 v8, v[4:5], v[6:7] offset0:4 offset1:5
	ds_write_b64 v8, v[80:81] offset:48
.LBB0_7:
	s_or_b64 exec, exec, s[8:9]
	v_mov_b32_e32 v8, 37
	v_mul_lo_u16_sdwa v8, v62, v8 dst_sel:DWORD dst_unused:UNUSED_PAD src0_sel:BYTE_0 src1_sel:DWORD
	v_sub_u16_sdwa v9, v62, v8 dst_sel:DWORD dst_unused:UNUSED_PAD src0_sel:DWORD src1_sel:BYTE_1
	v_lshrrev_b16_e32 v9, 1, v9
	v_and_b32_e32 v9, 0x7f, v9
	v_add_u16_sdwa v8, v9, v8 dst_sel:DWORD dst_unused:UNUSED_PAD src0_sel:DWORD src1_sel:BYTE_1
	v_lshrrev_b16_e32 v112, 2, v8
	v_mul_lo_u16_e32 v8, 7, v112
	v_sub_u16_e32 v8, v62, v8
	v_and_b32_e32 v113, 0xff, v8
	v_lshlrev_b32_e32 v24, 6, v113
	s_waitcnt lgkmcnt(0)
	; wave barrier
	s_waitcnt lgkmcnt(0)
	global_load_dwordx4 v[20:23], v24, s[0:1]
	global_load_dwordx4 v[16:19], v24, s[0:1] offset:16
	global_load_dwordx4 v[12:15], v24, s[0:1] offset:32
	;; [unrolled: 1-line block ×3, first 2 shown]
	v_add_u32_e32 v54, 0x800, v58
	ds_read2_b64 v[24:27], v58 offset1:63
	ds_read2_b64 v[28:31], v58 offset0:126 offset1:189
	ds_read_b64 v[32:33], v58 offset:4032
	v_add_u32_e32 v46, 0x400, v58
	ds_read2_b64 v[36:39], v54 offset0:122 offset1:185
	ds_read2_b64 v[40:43], v46 offset0:124 offset1:187
	s_waitcnt lgkmcnt(4)
	v_mov_b32_e32 v48, v27
	s_waitcnt lgkmcnt(3)
	v_mov_b32_e32 v49, v29
	v_mov_b32_e32 v50, v29
	;; [unrolled: 1-line block ×5, first 2 shown]
	s_waitcnt lgkmcnt(2)
	v_mov_b32_e32 v57, v33
	v_mov_b32_e32 v90, v33
	s_waitcnt lgkmcnt(1)
	v_mov_b32_e32 v56, v39
	v_mov_b32_e32 v33, v39
	;; [unrolled: 1-line block ×8, first 2 shown]
	s_mov_b32 s14, 0x3f248dbb
	s_mov_b32 s15, 0x3f7c1c5c
	;; [unrolled: 1-line block ×8, first 2 shown]
	s_waitcnt lgkmcnt(0)
	; wave barrier
	s_waitcnt lgkmcnt(0)
	s_mov_b32 s24, s15
	s_waitcnt vmcnt(3)
	v_mov_b32_e32 v86, v23
	s_waitcnt vmcnt(2)
	v_mov_b32_e32 v92, v19
	s_waitcnt vmcnt(1)
	v_pk_mul_f32 v[94:95], v[42:43], v[12:13] op_sel:[0,1]
	v_pk_mul_f32 v[96:97], v[30:31], v[16:17]
	v_mov_b32_e32 v87, v21
	s_waitcnt vmcnt(0)
	v_mov_b32_e32 v82, v11
	v_pk_mul_f32 v[100:101], v[36:37], v[14:15]
	v_mov_b32_e32 v93, v14
	v_pk_fma_f32 v[108:109], v[42:43], v[12:13], v[94:95] op_sel:[0,0,1] op_sel_hi:[1,1,0] neg_lo:[0,0,1] neg_hi:[0,0,1]
	v_pk_fma_f32 v[42:43], v[42:43], v[12:13], v[94:95] op_sel:[0,0,1] op_sel_hi:[1,0,0]
	v_mov_b32_e32 v55, v16
	v_mov_b32_e32 v96, v20
	;; [unrolled: 1-line block ×5, first 2 shown]
	v_pk_mul_f32 v[106:107], v[40:41], v[92:93] op_sel_hi:[1,0]
	v_mov_b32_e32 v42, v97
	v_pk_mul_f32 v[28:29], v[28:29], v[86:87]
	v_mov_b32_e32 v97, v86
	v_mov_b32_e32 v99, v82
	;; [unrolled: 1-line block ×8, first 2 shown]
	v_pk_mul_f32 v[94:95], v[30:31], v[54:55]
	v_pk_mul_f32 v[32:33], v[32:33], v[82:83]
	;; [unrolled: 1-line block ×3, first 2 shown]
	v_pk_fma_f32 v[30:31], v[30:31], v[16:17], v[42:43] neg_lo:[0,0,1] neg_hi:[0,0,1]
	v_mov_b32_e32 v109, v43
	v_pk_mul_f32 v[42:43], v[48:49], v[96:97]
	v_pk_fma_f32 v[48:49], v[50:51], v[22:23], v[28:29] op_sel_hi:[1,0,1]
	v_pk_fma_f32 v[22:23], v[50:51], v[22:23], v[28:29] neg_lo:[0,0,1] neg_hi:[0,0,1]
	v_pk_mul_f32 v[28:29], v[56:57], v[98:99]
	v_pk_mul_f32 v[102:103], v[34:35], v[16:17]
	;; [unrolled: 1-line block ×3, first 2 shown]
	v_pk_fma_f32 v[50:51], v[90:91], v[10:11], v[32:33] op_sel_hi:[1,0,1]
	v_pk_fma_f32 v[10:11], v[90:91], v[10:11], v[32:33] neg_lo:[0,0,1] neg_hi:[0,0,1]
	v_pk_fma_f32 v[32:33], v[36:37], v[14:15], v[92:93] neg_lo:[0,0,1] neg_hi:[0,0,1]
	v_pk_fma_f32 v[36:37], v[38:39], v[84:85], v[28:29]
	v_pk_fma_f32 v[28:29], v[52:53], v[84:85], v[28:29] neg_lo:[0,0,1] neg_hi:[0,0,1]
	v_mov_b32_e32 v49, v23
	v_mov_b32_e32 v100, v23
	v_pk_fma_f32 v[22:23], v[44:45], v[88:89], v[42:43] neg_lo:[0,0,1] neg_hi:[0,0,1]
	v_pk_fma_f32 v[110:111], v[40:41], v[18:19], v[106:107] op_sel:[0,0,1] op_sel_hi:[1,1,0] neg_lo:[0,0,1] neg_hi:[0,0,1]
	v_pk_fma_f32 v[40:41], v[40:41], v[18:19], v[106:107] op_sel:[0,0,1] op_sel_hi:[1,0,0]
	v_pk_fma_f32 v[26:27], v[26:27], v[88:89], v[42:43]
	v_mov_b32_e32 v37, v29
	v_mov_b32_e32 v104, v29
	;; [unrolled: 1-line block ×7, first 2 shown]
	v_pk_add_f32 v[40:41], v[48:49], v[36:37]
	v_pk_add_f32 v[36:37], v[48:49], v[36:37] neg_lo:[0,1] neg_hi:[0,1]
	v_pk_add_f32 v[42:43], v[100:101], v[104:105]
	v_pk_add_f32 v[10:11], v[94:95], v[102:103]
	;; [unrolled: 1-line block ×3, first 2 shown]
	v_pk_add_f32 v[26:27], v[26:27], v[50:51] neg_lo:[0,1] neg_hi:[0,1]
	v_pk_mul_f32 v[28:29], v[36:37], s[8:9]
	v_mov_b32_e32 v22, v11
	v_mov_b32_e32 v23, v30
	;; [unrolled: 1-line block ×4, first 2 shown]
	v_pk_fma_f32 v[28:29], v[26:27], s[14:15], v[28:29]
	v_pk_add_f32 v[22:23], v[22:23], v[44:45] neg_lo:[0,1] neg_hi:[0,1]
	s_mov_b32 s8, 0x3f5db3d7
	v_pk_add_f32 v[44:45], v[110:111], v[108:109] neg_lo:[0,1] neg_hi:[0,1]
	v_pk_fma_f32 v[28:29], v[22:23], s[8:9], v[28:29] op_sel_hi:[1,0,1]
	v_pk_mul_f32 v[48:49], v[44:45], s[16:17] op_sel_hi:[1,0]
	v_mov_b32_e32 v31, v40
	v_pk_add_f32 v[28:29], v[48:49], v[28:29] op_sel:[1,0] op_sel_hi:[0,1]
	v_mov_b32_e32 v48, v42
	v_mov_b32_e32 v49, v38
	;; [unrolled: 1-line block ×3, first 2 shown]
	v_pk_fma_f32 v[50:51], v[48:49], s[18:19], v[24:25] op_sel_hi:[1,0,1]
	v_mov_b32_e32 v41, v40
	v_mov_b32_e32 v40, v10
	v_pk_add_f32 v[30:31], v[30:31], v[32:33]
	v_pk_add_f32 v[10:11], v[10:11], v[42:43]
	v_pk_fma_f32 v[50:51], v[40:41], s[20:21], v[50:51] op_sel_hi:[1,0,1]
	v_mov_b32_e32 v32, v30
	v_mov_b32_e32 v33, v11
	v_pk_fma_f32 v[38:39], v[32:33], 0.5, v[50:51] op_sel_hi:[1,0,1] neg_lo:[1,0,0] neg_hi:[1,0,0]
	v_pk_add_f32 v[42:43], v[110:111], v[108:109]
	v_pk_add_f32 v[52:53], v[10:11], v[30:31]
	v_pk_fma_f32 v[38:39], v[42:43], s[22:23], v[38:39] op_sel_hi:[1,0,1] neg_lo:[1,0,0] neg_hi:[1,0,0]
	v_pk_add_f32 v[52:53], v[110:111], v[52:53]
	v_pk_add_f32 v[50:51], v[38:39], v[28:29]
	v_pk_add_f32 v[38:39], v[38:39], v[28:29] neg_lo:[0,1] neg_hi:[0,1]
	v_mul_u32_u24_e32 v11, 63, v112
	v_pk_add_f32 v[52:53], v[108:109], v[52:53]
	v_add_lshl_u32 v83, v11, v113, 3
	v_pk_add_f32 v[52:53], v[52:53], v[24:25]
	v_mov_b32_e32 v51, v39
	v_fma_f32 v29, 2.0, v29, v39
	ds_write2_b64 v83, v[52:53], v[50:51] offset1:7
	v_mov_b32_e32 v38, v26
	v_mov_b32_e32 v39, v37
	v_pk_mul_f32 v[52:53], v[44:45], s[14:15] op_sel_hi:[1,0]
	v_pk_fma_f32 v[56:57], v[42:43], s[18:19], v[24:25] op_sel_hi:[1,0,1]
	v_pk_fma_f32 v[52:53], v[38:39], s[24:25], v[52:53] op_sel:[0,0,1] op_sel_hi:[1,0,0] neg_lo:[0,0,1] neg_hi:[0,0,1]
	v_pk_fma_f32 v[56:57], v[48:49], s[20:21], v[56:57] op_sel_hi:[1,0,1]
	v_fma_f32 v28, -2.0, v28, v50
	v_mov_b32_e32 v50, v36
	v_mov_b32_e32 v51, v27
	v_pk_fma_f32 v[52:53], v[22:23], s[8:9], v[52:53] op_sel_hi:[1,0,1] neg_lo:[1,0,0] neg_hi:[1,0,0]
	v_pk_fma_f32 v[56:57], v[32:33], 0.5, v[56:57] op_sel_hi:[1,0,1] neg_lo:[1,0,0] neg_hi:[1,0,0]
	v_pk_fma_f32 v[52:53], v[50:51], s[16:17], v[52:53] op_sel_hi:[1,0,1]
	v_pk_fma_f32 v[56:57], v[40:41], s[22:23], v[56:57] op_sel_hi:[1,0,1] neg_lo:[1,0,0] neg_hi:[1,0,0]
	v_mov_b32_e32 v11, v31
	v_pk_add_f32 v[90:91], v[56:57], v[52:53]
	v_pk_add_f32 v[56:57], v[56:57], v[52:53] neg_lo:[0,1] neg_hi:[0,1]
	v_pk_add_f32 v[30:31], v[32:33], v[24:25]
	v_fma_f32 v56, -2.0, v52, v90
	v_mov_b32_e32 v91, v57
	v_fmac_f32_e32 v57, 2.0, v53
	v_mov_b32_e32 v52, v37
	v_mov_b32_e32 v53, v26
	;; [unrolled: 1-line block ×4, first 2 shown]
	v_pk_add_f32 v[36:37], v[44:45], v[52:53]
	v_pk_add_f32 v[10:11], v[42:43], v[10:11]
	v_pk_add_f32 v[26:27], v[36:37], v[26:27] neg_lo:[0,1] neg_hi:[0,1]
	v_pk_fma_f32 v[10:11], v[10:11], 0.5, v[30:31] op_sel_hi:[1,0,1] neg_lo:[1,0,0] neg_hi:[1,0,0]
	v_pk_mul_f32 v[26:27], v[26:27], s[8:9] op_sel_hi:[1,0]
	s_mov_b64 s[14:15], 0x7e
	v_pk_add_f32 v[30:31], v[10:11], v[26:27] op_sel:[0,1] op_sel_hi:[1,0]
	v_pk_add_f32 v[10:11], v[10:11], v[26:27] op_sel:[0,1] op_sel_hi:[1,0] neg_lo:[0,1] neg_hi:[0,1]
	v_lshl_add_u64 v[52:53], v[62:63], 0, s[14:15]
	v_fma_f32 v10, -2.0, v27, v30
	v_mov_b32_e32 v31, v11
	v_fmac_f32_e32 v11, 2.0, v26
	s_mov_b32 s14, 0xbf248dbb
	v_pk_mul_f32 v[26:27], v[44:45], s[24:25] op_sel_hi:[1,0]
	v_pk_fma_f32 v[24:25], v[40:41], s[18:19], v[24:25] op_sel_hi:[1,0,1]
	v_pk_fma_f32 v[26:27], v[50:51], s[14:15], v[26:27] op_sel:[0,0,1] op_sel_hi:[1,0,0] neg_lo:[0,0,1] neg_hi:[0,0,1]
	v_pk_fma_f32 v[24:25], v[42:43], s[20:21], v[24:25] op_sel_hi:[1,0,1]
	v_pk_fma_f32 v[22:23], v[22:23], s[8:9], v[26:27] op_sel_hi:[1,0,1]
	v_pk_fma_f32 v[24:25], v[32:33], 0.5, v[24:25] op_sel_hi:[1,0,1] neg_lo:[1,0,0] neg_hi:[1,0,0]
	v_pk_fma_f32 v[22:23], v[38:39], s[16:17], v[22:23] op_sel_hi:[1,0,1]
	v_pk_fma_f32 v[24:25], v[48:49], s[22:23], v[24:25] op_sel_hi:[1,0,1] neg_lo:[1,0,0] neg_hi:[1,0,0]
	ds_write2_b64 v83, v[90:91], v[30:31] offset0:14 offset1:21
	v_pk_add_f32 v[26:27], v[24:25], v[22:23]
	v_pk_add_f32 v[24:25], v[24:25], v[22:23] neg_lo:[0,1] neg_hi:[0,1]
	v_lshlrev_b32_e32 v47, 4, v62
	v_fma_f32 v24, -2.0, v22, v26
	v_mov_b32_e32 v27, v25
	v_fmac_f32_e32 v25, 2.0, v23
	ds_write2_b64 v83, v[26:27], v[24:25] offset0:28 offset1:35
	ds_write2_b64 v83, v[10:11], v[56:57] offset0:42 offset1:49
	ds_write_b64 v83, v[28:29] offset:448
	v_mov_b32_e32 v10, 5
	v_mul_lo_u16_sdwa v10, v52, v10 dst_sel:DWORD dst_unused:UNUSED_PAD src0_sel:BYTE_0 src1_sel:DWORD
	v_sub_u16_sdwa v11, v52, v10 dst_sel:DWORD dst_unused:UNUSED_PAD src0_sel:DWORD src1_sel:BYTE_1
	v_lshrrev_b16_e32 v11, 1, v11
	v_and_b32_e32 v11, 0x7f, v11
	v_add_u16_sdwa v10, v11, v10 dst_sel:DWORD dst_unused:UNUSED_PAD src0_sel:DWORD src1_sel:BYTE_1
	v_lshrrev_b16_e32 v10, 5, v10
	v_mul_lo_u16_e32 v10, 63, v10
	s_waitcnt lgkmcnt(0)
	; wave barrier
	s_waitcnt lgkmcnt(0)
	global_load_dwordx4 v[22:25], v47, s[0:1] offset:448
	v_sub_u16_e32 v35, v52, v10
	v_mov_b32_e32 v10, 4
	v_lshlrev_b32_sdwa v10, v10, v35 dst_sel:DWORD dst_unused:UNUSED_PAD src0_sel:DWORD src1_sel:BYTE_0
	global_load_dwordx4 v[26:29], v10, s[0:1] offset:448
	ds_read2_b64 v[30:33], v54 offset0:122 offset1:185
	ds_read2_b64 v[36:39], v46 offset0:124 offset1:187
	s_waitcnt vmcnt(1)
	v_mov_b32_e32 v10, v25
	s_waitcnt lgkmcnt(1)
	v_pk_mul_f32 v[40:41], v[30:31], v[10:11] op_sel_hi:[1,0]
	v_pk_mul_f32 v[10:11], v[32:33], v[10:11] op_sel_hi:[1,0]
	v_pk_fma_f32 v[42:43], v[30:31], v[24:25], v[40:41] op_sel:[0,0,1] op_sel_hi:[1,1,0] neg_lo:[0,0,1] neg_hi:[0,0,1]
	v_pk_fma_f32 v[44:45], v[30:31], v[24:25], v[40:41] op_sel:[0,0,1] op_sel_hi:[1,0,0]
	s_waitcnt vmcnt(0) lgkmcnt(0)
	v_pk_mul_f32 v[30:31], v[38:39], v[26:27] op_sel:[0,1]
	v_pk_fma_f32 v[90:91], v[32:33], v[24:25], v[10:11] op_sel:[0,0,1] op_sel_hi:[1,1,0] neg_lo:[0,0,1] neg_hi:[0,0,1]
	v_pk_fma_f32 v[48:49], v[38:39], v[26:27], v[30:31] op_sel:[0,0,1] op_sel_hi:[1,1,0] neg_lo:[0,0,1] neg_hi:[0,0,1]
	v_pk_fma_f32 v[50:51], v[38:39], v[26:27], v[30:31] op_sel:[0,0,1] op_sel_hi:[1,0,0]
	ds_read2_b64 v[38:41], v58 offset0:126 offset1:189
	v_pk_mul_f32 v[30:31], v[36:37], v[22:23] op_sel:[0,1]
	v_pk_fma_f32 v[10:11], v[32:33], v[24:25], v[10:11] op_sel:[0,0,1] op_sel_hi:[1,0,0]
	v_pk_fma_f32 v[56:57], v[36:37], v[22:23], v[30:31] op_sel:[0,0,1] op_sel_hi:[1,1,0] neg_lo:[0,0,1] neg_hi:[0,0,1]
	v_pk_fma_f32 v[36:37], v[36:37], v[22:23], v[30:31] op_sel:[0,0,1] op_sel_hi:[1,0,0]
	ds_read2_b64 v[30:33], v58 offset1:63
	s_waitcnt lgkmcnt(1)
	v_pk_mul_f32 v[92:93], v[40:41], v[22:23] op_sel:[0,1]
	v_mov_b32_e32 v43, v45
	v_pk_fma_f32 v[94:95], v[40:41], v[22:23], v[92:93] op_sel:[0,0,1] op_sel_hi:[1,1,0] neg_lo:[0,0,1] neg_hi:[0,0,1]
	v_pk_fma_f32 v[40:41], v[40:41], v[22:23], v[92:93] op_sel:[0,0,1] op_sel_hi:[1,0,0]
	v_mov_b32_e32 v10, v29
	v_mov_b32_e32 v95, v41
	v_pk_add_f32 v[40:41], v[94:95], v[42:43]
	v_pk_add_f32 v[44:45], v[94:95], v[42:43] neg_lo:[0,1] neg_hi:[0,1]
	s_waitcnt lgkmcnt(0)
	v_pk_fma_f32 v[40:41], v[40:41], 0.5, v[30:31] op_sel_hi:[1,0,1] neg_lo:[1,0,0] neg_hi:[1,0,0]
	v_pk_add_f32 v[30:31], v[30:31], v[94:95]
	v_pk_mul_f32 v[44:45], v[44:45], s[8:9] op_sel_hi:[1,0]
	v_pk_add_f32 v[30:31], v[30:31], v[42:43]
	ds_read_b64 v[42:43], v58 offset:4032
	v_pk_add_f32 v[92:93], v[40:41], v[44:45] op_sel:[0,1] op_sel_hi:[1,0]
	v_pk_add_f32 v[40:41], v[40:41], v[44:45] op_sel:[0,1] op_sel_hi:[1,0] neg_lo:[0,1] neg_hi:[0,1]
	v_mov_b32_e32 v44, v92
	v_mov_b32_e32 v45, v41
	s_waitcnt lgkmcnt(0)
	; wave barrier
	s_waitcnt lgkmcnt(0)
	ds_write2_b64 v58, v[30:31], v[44:45] offset1:63
	v_pk_mul_f32 v[30:31], v[42:43], v[10:11] op_sel_hi:[1,0]
	v_mov_b32_e32 v57, v37
	v_mov_b32_e32 v10, 3
	;; [unrolled: 1-line block ×3, first 2 shown]
	v_pk_fma_f32 v[44:45], v[42:43], v[28:29], v[30:31] op_sel:[0,0,1] op_sel_hi:[1,1,0] neg_lo:[0,0,1] neg_hi:[0,0,1]
	v_pk_fma_f32 v[30:31], v[42:43], v[28:29], v[30:31] op_sel:[0,0,1] op_sel_hi:[1,0,0]
	v_lshlrev_b32_sdwa v63, v10, v35 dst_sel:DWORD dst_unused:UNUSED_PAD src0_sel:DWORD src1_sel:BYTE_0
	v_pk_add_f32 v[10:11], v[56:57], v[90:91]
	v_mov_b32_e32 v45, v31
	v_pk_fma_f32 v[10:11], v[10:11], 0.5, v[32:33] op_sel_hi:[1,0,1] neg_lo:[1,0,0] neg_hi:[1,0,0]
	v_pk_add_f32 v[30:31], v[32:33], v[56:57]
	v_pk_add_f32 v[32:33], v[56:57], v[90:91] neg_lo:[0,1] neg_hi:[0,1]
	v_mov_b32_e32 v41, v93
	v_pk_mul_f32 v[32:33], v[32:33], s[8:9] op_sel_hi:[1,0]
	v_pk_add_f32 v[30:31], v[30:31], v[90:91]
	v_pk_add_f32 v[36:37], v[10:11], v[32:33] op_sel:[0,1] op_sel_hi:[1,0] neg_lo:[0,1] neg_hi:[0,1]
	v_pk_add_f32 v[10:11], v[10:11], v[32:33] op_sel:[0,1] op_sel_hi:[1,0]
	v_mov_b32_e32 v49, v51
	ds_write2_b64 v58, v[40:41], v[30:31] offset0:126 offset1:189
	v_mov_b32_e32 v30, v10
	v_mov_b32_e32 v31, v37
	;; [unrolled: 1-line block ×3, first 2 shown]
	ds_write2_b64 v46, v[30:31], v[36:37] offset0:124 offset1:187
	v_pk_add_f32 v[10:11], v[48:49], v[44:45]
	v_pk_add_f32 v[30:31], v[48:49], v[44:45] neg_lo:[0,1] neg_hi:[0,1]
	v_pk_fma_f32 v[10:11], v[10:11], 0.5, v[38:39] op_sel_hi:[1,0,1] neg_lo:[1,0,0] neg_hi:[1,0,0]
	v_pk_mul_f32 v[30:31], v[30:31], s[8:9] op_sel_hi:[1,0]
	v_pk_add_f32 v[32:33], v[38:39], v[48:49]
	v_pk_add_f32 v[36:37], v[10:11], v[30:31] op_sel:[0,1] op_sel_hi:[1,0]
	v_pk_add_f32 v[10:11], v[10:11], v[30:31] op_sel:[0,1] op_sel_hi:[1,0] neg_lo:[0,1] neg_hi:[0,1]
	v_pk_add_f32 v[32:33], v[32:33], v[44:45]
	v_mov_b32_e32 v30, v36
	v_mov_b32_e32 v31, v11
	v_add_u32_e32 v11, 0x800, v63
	ds_write2_b64 v11, v[32:33], v[30:31] offset0:122 offset1:185
	v_mov_b32_e32 v11, v37
	ds_write_b64 v63, v[10:11] offset:4032
	v_lshlrev_b32_e32 v10, 4, v52
	s_waitcnt lgkmcnt(0)
	; wave barrier
	s_waitcnt lgkmcnt(0)
	global_load_dwordx4 v[30:33], v10, s[0:1] offset:1456
	v_lshlrev_b32_e32 v10, 4, v34
	global_load_dwordx4 v[34:37], v10, s[0:1] offset:1456
	global_load_dwordx4 v[38:41], v47, s[0:1] offset:1456
	ds_read2_b64 v[42:45], v46 offset0:124 offset1:187
	ds_read2_b64 v[48:51], v54 offset0:122 offset1:185
	;; [unrolled: 1-line block ×3, first 2 shown]
	s_movk_i32 s0, 0x1000
	s_waitcnt vmcnt(2) lgkmcnt(2)
	v_pk_mul_f32 v[10:11], v[44:45], v[30:31] op_sel:[0,1]
	s_nop 0
	v_pk_fma_f32 v[52:53], v[44:45], v[30:31], v[10:11] op_sel:[0,0,1] op_sel_hi:[1,1,0] neg_lo:[0,0,1] neg_hi:[0,0,1]
	v_pk_fma_f32 v[10:11], v[44:45], v[30:31], v[10:11] op_sel:[0,0,1] op_sel_hi:[1,0,0]
	s_waitcnt vmcnt(1)
	v_pk_mul_f32 v[44:45], v[42:43], v[34:35] op_sel:[0,1]
	s_waitcnt vmcnt(0)
	v_mov_b32_e32 v10, v41
	v_pk_fma_f32 v[56:57], v[42:43], v[34:35], v[44:45] op_sel:[0,0,1] op_sel_hi:[1,1,0] neg_lo:[0,0,1] neg_hi:[0,0,1]
	v_pk_fma_f32 v[94:95], v[42:43], v[34:35], v[44:45] op_sel:[0,0,1] op_sel_hi:[1,0,0]
	s_waitcnt lgkmcnt(1)
	v_pk_mul_f32 v[42:43], v[48:49], v[10:11] op_sel_hi:[1,0]
	v_mov_b32_e32 v10, v37
	v_pk_fma_f32 v[96:97], v[48:49], v[40:41], v[42:43] op_sel:[0,0,1] op_sel_hi:[1,1,0] neg_lo:[0,0,1] neg_hi:[0,0,1]
	v_pk_fma_f32 v[48:49], v[48:49], v[40:41], v[42:43] op_sel:[0,0,1] op_sel_hi:[1,0,0]
	v_pk_mul_f32 v[42:43], v[50:51], v[10:11] op_sel_hi:[1,0]
	s_waitcnt lgkmcnt(0)
	v_pk_mul_f32 v[100:101], v[92:93], v[38:39] op_sel:[0,1]
	v_pk_fma_f32 v[98:99], v[50:51], v[36:37], v[42:43] op_sel:[0,0,1] op_sel_hi:[1,1,0] neg_lo:[0,0,1] neg_hi:[0,0,1]
	v_pk_fma_f32 v[50:51], v[50:51], v[36:37], v[42:43] op_sel:[0,0,1] op_sel_hi:[1,0,0]
	ds_read2_b64 v[42:45], v58 offset1:63
	v_pk_fma_f32 v[102:103], v[92:93], v[38:39], v[100:101] op_sel:[0,0,1] op_sel_hi:[1,1,0] neg_lo:[0,0,1] neg_hi:[0,0,1]
	v_pk_fma_f32 v[92:93], v[92:93], v[38:39], v[100:101] op_sel:[0,0,1] op_sel_hi:[1,0,0]
	v_mov_b32_e32 v97, v49
	v_mov_b32_e32 v103, v93
	v_mov_b32_e32 v99, v51
	ds_read_b64 v[50:51], v58 offset:4032
	v_pk_add_f32 v[48:49], v[102:103], v[96:97]
	v_pk_add_f32 v[92:93], v[102:103], v[96:97] neg_lo:[0,1] neg_hi:[0,1]
	s_waitcnt lgkmcnt(1)
	v_pk_fma_f32 v[48:49], v[48:49], 0.5, v[42:43] op_sel_hi:[1,0,1] neg_lo:[1,0,0] neg_hi:[1,0,0]
	v_pk_mul_f32 v[92:93], v[92:93], s[8:9] op_sel_hi:[1,0]
	v_mov_b32_e32 v57, v95
	v_pk_add_f32 v[100:101], v[48:49], v[92:93] op_sel:[0,1] op_sel_hi:[1,0]
	v_pk_add_f32 v[48:49], v[48:49], v[92:93] op_sel:[0,1] op_sel_hi:[1,0] neg_lo:[0,1] neg_hi:[0,1]
	v_mov_b32_e32 v10, v33
	v_mov_b32_e32 v93, v49
	;; [unrolled: 1-line block ×4, first 2 shown]
	ds_write_b64 v58, v[48:49] offset:3024
	v_pk_add_f32 v[42:43], v[42:43], v[102:103]
	v_pk_add_f32 v[48:49], v[44:45], v[56:57]
	v_mov_b32_e32 v53, v11
	s_waitcnt lgkmcnt(1)
	v_pk_mul_f32 v[10:11], v[50:51], v[10:11] op_sel_hi:[1,0]
	ds_write_b64 v58, v[92:93] offset:1512
	v_pk_add_f32 v[42:43], v[42:43], v[96:97]
	v_pk_add_f32 v[48:49], v[48:49], v[98:99]
	v_pk_fma_f32 v[92:93], v[50:51], v[32:33], v[10:11] op_sel:[0,0,1] op_sel_hi:[1,1,0] neg_lo:[0,0,1] neg_hi:[0,0,1]
	v_pk_fma_f32 v[10:11], v[50:51], v[32:33], v[10:11] op_sel:[0,0,1] op_sel_hi:[1,0,0]
	ds_write2_b64 v58, v[42:43], v[48:49] offset1:63
	v_pk_add_f32 v[42:43], v[56:57], v[98:99]
	v_mov_b32_e32 v93, v11
	v_pk_fma_f32 v[48:49], v[42:43], 0.5, v[44:45] op_sel_hi:[1,0,1] neg_lo:[1,0,0] neg_hi:[1,0,0]
	v_pk_add_f32 v[10:11], v[52:53], v[92:93]
	v_pk_add_f32 v[42:43], v[52:53], v[92:93] neg_lo:[0,1] neg_hi:[0,1]
	v_pk_fma_f32 v[10:11], v[10:11], 0.5, v[90:91] op_sel_hi:[1,0,1] neg_lo:[1,0,0] neg_hi:[1,0,0]
	v_pk_mul_f32 v[42:43], v[42:43], s[8:9] op_sel_hi:[1,0]
	s_nop 0
	v_pk_add_f32 v[50:51], v[10:11], v[42:43] op_sel:[0,1] op_sel_hi:[1,0]
	v_pk_add_f32 v[44:45], v[10:11], v[42:43] op_sel:[0,1] op_sel_hi:[1,0] neg_lo:[0,1] neg_hi:[0,1]
	v_pk_add_f32 v[10:11], v[56:57], v[98:99] neg_lo:[0,1] neg_hi:[0,1]
	v_mov_b32_e32 v42, v50
	v_pk_mul_f32 v[10:11], v[10:11], s[8:9] op_sel_hi:[1,0]
	v_mov_b32_e32 v43, v45
	v_mov_b32_e32 v45, v51
	v_pk_add_f32 v[50:51], v[48:49], v[10:11] op_sel:[0,1] op_sel_hi:[1,0]
	v_pk_add_f32 v[10:11], v[48:49], v[10:11] op_sel:[0,1] op_sel_hi:[1,0] neg_lo:[0,1] neg_hi:[0,1]
	v_mov_b32_e32 v48, v50
	v_mov_b32_e32 v49, v11
	;; [unrolled: 1-line block ×3, first 2 shown]
	ds_write_b64 v58, v[10:11] offset:3528
	v_lshlrev_b32_e32 v10, 3, v62
	v_mov_b32_e32 v11, 0
	v_pk_add_f32 v[50:51], v[90:91], v[52:53]
	v_lshl_add_u64 v[10:11], s[12:13], 0, v[10:11]
	v_pk_add_f32 v[50:51], v[50:51], v[92:93]
	ds_write_b64 v58, v[50:51] offset:1008
	ds_write2_b64 v46, v[48:49], v[42:43] offset0:124 offset1:187
	ds_write_b64 v58, v[44:45] offset:4032
	v_add_co_u32_e32 v48, vcc, s0, v10
	s_waitcnt lgkmcnt(0)
	s_nop 0
	v_addc_co_u32_e32 v49, vcc, 0, v11, vcc
	; wave barrier
	global_load_dwordx2 v[52:53], v[48:49], off offset:440
	s_mov_b64 s[0:1], 0x11b8
	v_lshl_add_u64 v[10:11], v[10:11], 0, s[0:1]
	global_load_dwordx2 v[56:57], v[10:11], off offset:648
	global_load_dwordx2 v[90:91], v[10:11], off offset:1296
	;; [unrolled: 1-line block ×6, first 2 shown]
	ds_read2_b64 v[48:51], v58 offset1:81
	s_waitcnt vmcnt(6) lgkmcnt(0)
	v_mul_f32_e32 v47, v49, v53
	v_mul_f32_e32 v93, v48, v53
	v_fma_f32 v92, v48, v52, -v47
	v_fmac_f32_e32 v93, v49, v52
	s_waitcnt vmcnt(5)
	v_mul_f32_e32 v47, v51, v57
	v_mul_f32_e32 v49, v50, v57
	v_fma_f32 v48, v50, v56, -v47
	v_fmac_f32_e32 v49, v51, v56
	ds_write2_b64 v58, v[92:93], v[48:49] offset1:81
	ds_read2_b64 v[48:51], v58 offset0:162 offset1:243
	s_waitcnt vmcnt(4) lgkmcnt(0)
	v_mul_f32_e32 v47, v49, v91
	v_mul_f32_e32 v53, v48, v91
	v_fma_f32 v52, v48, v90, -v47
	v_fmac_f32_e32 v53, v49, v90
	ds_read2_b64 v[90:93], v54 offset0:68 offset1:149
	s_waitcnt vmcnt(3)
	v_mul_f32_e32 v47, v51, v95
	v_mul_f32_e32 v49, v50, v95
	v_fma_f32 v48, v50, v94, -v47
	v_fmac_f32_e32 v49, v51, v94
	s_waitcnt vmcnt(2) lgkmcnt(0)
	v_mul_f32_e32 v47, v91, v97
	v_mul_f32_e32 v51, v90, v97
	v_fma_f32 v50, v90, v96, -v47
	v_fmac_f32_e32 v51, v91, v96
	ds_read_b64 v[90:91], v58 offset:3888
	s_waitcnt vmcnt(1)
	v_mul_f32_e32 v47, v93, v99
	v_mul_f32_e32 v57, v92, v99
	v_fma_f32 v56, v92, v98, -v47
	v_fmac_f32_e32 v57, v93, v98
	ds_write2_b64 v58, v[52:53], v[48:49] offset0:162 offset1:243
	ds_write2_b64 v54, v[50:51], v[56:57] offset0:68 offset1:149
	s_waitcnt vmcnt(0) lgkmcnt(2)
	v_mul_f32_e32 v47, v91, v101
	v_mul_f32_e32 v49, v90, v101
	v_fma_f32 v48, v90, v100, -v47
	v_fmac_f32_e32 v49, v91, v100
	ds_write_b64 v58, v[48:49] offset:3888
	s_and_saveexec_b64 s[0:1], s[2:3]
	s_cbranch_execz .LBB0_9
; %bb.8:
	global_load_dwordx2 v[52:53], v[10:11], off offset:504
	global_load_dwordx2 v[56:57], v[10:11], off offset:1152
	;; [unrolled: 1-line block ×6, first 2 shown]
	v_add_co_u32_e32 v10, vcc, 0x1000, v10
	s_nop 1
	v_addc_co_u32_e32 v11, vcc, 0, v11, vcc
	global_load_dwordx2 v[10:11], v[10:11], off offset:296
	ds_read2_b64 v[48:51], v58 offset0:63 offset1:144
	ds_read2_b64 v[90:93], v46 offset0:97 offset1:178
	;; [unrolled: 1-line block ×3, first 2 shown]
	ds_read_b64 v[106:107], v58 offset:4392
	s_waitcnt vmcnt(6) lgkmcnt(3)
	v_mul_f32_e32 v47, v49, v53
	v_mul_f32_e32 v109, v48, v53
	s_waitcnt vmcnt(5)
	v_mul_f32_e32 v55, v51, v57
	v_mul_f32_e32 v53, v50, v57
	s_waitcnt vmcnt(4) lgkmcnt(2)
	v_mul_f32_e32 v87, v91, v99
	v_mul_f32_e32 v57, v90, v99
	s_waitcnt vmcnt(3)
	v_mul_f32_e32 v110, v93, v101
	v_mul_f32_e32 v99, v92, v101
	;; [unrolled: 6-line block ×3, first 2 shown]
	v_fma_f32 v108, v48, v52, -v47
	v_fmac_f32_e32 v109, v49, v52
	v_fma_f32 v52, v50, v56, -v55
	v_fmac_f32_e32 v53, v51, v56
	v_fma_f32 v56, v90, v98, -v87
	v_fmac_f32_e32 v57, v91, v98
	v_fma_f32 v98, v92, v100, -v110
	v_fmac_f32_e32 v99, v93, v100
	v_fma_f32 v100, v94, v102, -v111
	v_fmac_f32_e32 v101, v95, v102
	v_fma_f32 v102, v96, v104, -v112
	v_fmac_f32_e32 v103, v97, v104
	ds_write2_b64 v58, v[108:109], v[52:53] offset0:63 offset1:144
	ds_write2_b64 v46, v[56:57], v[98:99] offset0:97 offset1:178
	;; [unrolled: 1-line block ×3, first 2 shown]
	s_waitcnt vmcnt(0) lgkmcnt(3)
	v_mul_f32_e32 v46, v107, v11
	v_mul_f32_e32 v47, v106, v11
	v_fma_f32 v46, v106, v10, -v46
	v_fmac_f32_e32 v47, v107, v10
	ds_write_b64 v58, v[46:47] offset:4392
.LBB0_9:
	s_or_b64 exec, exec, s[0:1]
	s_waitcnt lgkmcnt(0)
	; wave barrier
	s_waitcnt lgkmcnt(0)
	ds_read2_b64 v[50:53], v58 offset1:81
	ds_read2_b64 v[46:49], v58 offset0:162 offset1:243
	ds_read2_b64 v[54:57], v54 offset0:68 offset1:149
	ds_read_b64 v[112:113], v58 offset:3888
	s_and_saveexec_b64 s[0:1], s[2:3]
	s_cbranch_execz .LBB0_11
; %bb.10:
	v_add_u32_e32 v0, 0x400, v58
	v_add_u32_e32 v4, 0x800, v58
	ds_read2_b64 v[42:45], v58 offset0:63 offset1:144
	ds_read2_b64 v[0:3], v0 offset0:97 offset1:178
	;; [unrolled: 1-line block ×3, first 2 shown]
	ds_read_b64 v[80:81], v58 offset:4392
.LBB0_11:
	s_or_b64 exec, exec, s[0:1]
	s_waitcnt lgkmcnt(0)
	v_pk_add_f32 v[114:115], v[52:53], v[112:113]
	v_pk_add_f32 v[116:117], v[46:47], v[56:57]
	;; [unrolled: 1-line block ×4, first 2 shown]
	v_pk_add_f32 v[46:47], v[46:47], v[56:57] neg_lo:[0,1] neg_hi:[0,1]
	v_pk_add_f32 v[48:49], v[54:55], v[48:49] neg_lo:[0,1] neg_hi:[0,1]
	v_mov_b32_e32 v54, v118
	v_mov_b32_e32 v55, v115
	;; [unrolled: 1-line block ×4, first 2 shown]
	v_pk_add_f32 v[120:121], v[118:119], v[120:121]
	v_pk_add_f32 v[52:53], v[52:53], v[112:113] neg_lo:[0,1] neg_hi:[0,1]
	v_pk_add_f32 v[54:55], v[54:55], v[56:57] neg_lo:[0,1] neg_hi:[0,1]
	v_mov_b32_e32 v56, v114
	v_mov_b32_e32 v119, v117
	s_mov_b32 s14, 0xbeae86e6
	v_pk_add_f32 v[56:57], v[56:57], v[118:119] neg_lo:[0,1] neg_hi:[0,1]
	v_mov_b32_e32 v118, v49
	v_mov_b32_e32 v119, v52
	;; [unrolled: 1-line block ×4, first 2 shown]
	s_mov_b32 s16, 0x3d64c772
	s_mov_b32 s15, 0x3f08b237
	v_pk_add_f32 v[112:113], v[48:49], v[46:47]
	v_pk_add_f32 v[118:119], v[118:119], v[122:123] neg_lo:[0,1] neg_hi:[0,1]
	v_mov_b32_e32 v122, v53
	v_mov_b32_e32 v48, v49
	;; [unrolled: 1-line block ×3, first 2 shown]
	s_mov_b32 s17, 0x3f4a47b2
	s_mov_b32 s20, s15
	;; [unrolled: 1-line block ×3, first 2 shown]
	v_pk_add_f32 v[50:51], v[50:51], v[120:121]
	v_pk_add_f32 v[48:49], v[122:123], v[48:49] neg_lo:[0,1] neg_hi:[0,1]
	v_pk_add_f32 v[112:113], v[112:113], v[52:53]
	v_pk_mul_f32 v[54:55], v[54:55], s[16:17]
	s_mov_b32 s24, s17
	s_mov_b32 s25, s16
	;; [unrolled: 1-line block ×3, first 2 shown]
	v_pk_mul_f32 v[118:119], v[118:119], s[20:21]
	s_mov_b32 s18, 0xbf955555
	v_pk_mul_f32 v[122:123], v[56:57], s[24:25]
	v_pk_mul_f32 v[124:125], v[112:113], s[0:1] op_sel_hi:[1,0]
	v_pk_mul_f32 v[126:127], v[48:49], s[14:15]
	v_pk_fma_f32 v[56:57], v[56:57], s[24:25], v[54:55]
	v_pk_fma_f32 v[48:49], v[48:49], s[14:15], v[118:119]
	v_pk_fma_f32 v[120:121], v[120:121], s[18:19], v[50:51] op_sel_hi:[1,0,1]
	v_pk_add_f32 v[48:49], v[124:125], v[48:49] op_sel:[1,0] op_sel_hi:[0,1]
	v_pk_add_f32 v[56:57], v[56:57], v[120:121]
	s_nop 0
	v_pk_add_f32 v[124:125], v[56:57], v[48:49]
	v_pk_add_f32 v[48:49], v[56:57], v[48:49] neg_lo:[0,1] neg_hi:[0,1]
	v_mov_b32_e32 v56, v124
	v_mov_b32_e32 v57, v49
	; wave barrier
	ds_write2_b64 v59, v[50:51], v[56:57] offset1:1
	v_pk_add_f32 v[50:51], v[116:117], v[114:115] neg_lo:[0,1] neg_hi:[0,1]
	s_mov_b32 s8, 0x3f3bfb3b
	v_pk_add_f32 v[46:47], v[46:47], v[52:53] neg_lo:[0,1] neg_hi:[0,1]
	v_mov_b32_e32 v52, v122
	v_mov_b32_e32 v53, v55
	;; [unrolled: 1-line block ×3, first 2 shown]
	s_mov_b32 s12, 0xbf5ff5aa
	v_pk_fma_f32 v[52:53], v[50:51], s[8:9], v[52:53] op_sel_hi:[1,0,1] neg_lo:[1,0,1] neg_hi:[1,0,1]
	v_mov_b32_e32 v56, v119
	v_mov_b32_e32 v57, v126
	v_pk_fma_f32 v[50:51], v[50:51], s[8:9], v[54:55] op_sel_hi:[1,0,1] neg_lo:[0,0,1] neg_hi:[0,0,1]
	v_mov_b32_e32 v54, v127
	v_mov_b32_e32 v55, v118
	v_pk_fma_f32 v[56:57], v[46:47], s[12:13], v[56:57] op_sel_hi:[1,0,1] neg_lo:[1,0,1] neg_hi:[1,0,1]
	v_pk_fma_f32 v[46:47], v[46:47], s[12:13], v[54:55] op_sel_hi:[1,0,1] neg_lo:[0,0,1] neg_hi:[0,0,1]
	v_pk_fma_f32 v[56:57], v[112:113], s[0:1], v[56:57] op_sel_hi:[1,0,1]
	v_pk_add_f32 v[52:53], v[52:53], v[120:121]
	v_pk_fma_f32 v[46:47], v[112:113], s[0:1], v[46:47] op_sel_hi:[1,0,1]
	v_pk_add_f32 v[50:51], v[50:51], v[120:121]
	v_pk_add_f32 v[114:115], v[52:53], v[56:57] op_sel:[0,1] op_sel_hi:[1,0]
	v_pk_add_f32 v[52:53], v[52:53], v[56:57] op_sel:[0,1] op_sel_hi:[1,0] neg_lo:[0,1] neg_hi:[0,1]
	v_pk_add_f32 v[54:55], v[50:51], v[46:47] op_sel:[0,1] op_sel_hi:[1,0] neg_lo:[0,1] neg_hi:[0,1]
	v_pk_add_f32 v[46:47], v[50:51], v[46:47] op_sel:[0,1] op_sel_hi:[1,0]
	v_mov_b32_e32 v110, v18
	v_mov_b32_e32 v111, v18
	;; [unrolled: 1-line block ×43, first 2 shown]
	ds_write2_b64 v59, v[50:51], v[56:57] offset0:2 offset1:3
	ds_write2_b64 v59, v[46:47], v[52:53] offset0:4 offset1:5
	ds_write_b64 v59, v[48:49] offset:48
	s_and_saveexec_b64 s[22:23], s[2:3]
	s_cbranch_execz .LBB0_13
; %bb.12:
	v_pk_add_f32 v[46:47], v[80:81], v[44:45]
	v_pk_add_f32 v[50:51], v[6:7], v[0:1]
	;; [unrolled: 1-line block ×4, first 2 shown]
	v_mov_b32_e32 v56, v48
	v_pk_add_f32 v[52:53], v[48:49], v[52:53]
	v_mov_b32_e32 v112, v48
	v_mov_b32_e32 v113, v47
	;; [unrolled: 1-line block ×3, first 2 shown]
	v_pk_add_f32 v[44:45], v[44:45], v[80:81] neg_lo:[0,1] neg_hi:[0,1]
	v_pk_add_f32 v[2:3], v[4:5], v[2:3] neg_lo:[0,1] neg_hi:[0,1]
	v_pk_add_f32 v[0:1], v[0:1], v[6:7] neg_lo:[0,1] neg_hi:[0,1]
	v_mov_b32_e32 v55, v49
	v_pk_add_f32 v[48:49], v[112:113], v[48:49] neg_lo:[0,1] neg_hi:[0,1]
	v_mov_b32_e32 v80, v3
	v_mov_b32_e32 v81, v44
	;; [unrolled: 1-line block ×10, first 2 shown]
	v_pk_add_f32 v[80:81], v[80:81], v[112:113] neg_lo:[0,1] neg_hi:[0,1]
	v_pk_add_f32 v[2:3], v[2:3], v[0:1]
	v_pk_add_f32 v[42:43], v[42:43], v[52:53]
	v_pk_add_f32 v[54:55], v[54:55], v[56:57] neg_lo:[0,1] neg_hi:[0,1]
	v_pk_mul_f32 v[48:49], v[48:49], s[16:17]
	v_pk_add_f32 v[4:5], v[4:5], v[6:7] neg_lo:[0,1] neg_hi:[0,1]
	v_pk_mul_f32 v[80:81], v[80:81], s[20:21]
	v_pk_add_f32 v[2:3], v[2:3], v[44:45]
	v_pk_mul_f32 v[56:57], v[54:55], s[24:25]
	v_pk_fma_f32 v[54:55], v[54:55], s[24:25], v[48:49]
	v_pk_mul_f32 v[6:7], v[4:5], s[14:15]
	v_pk_fma_f32 v[4:5], v[4:5], s[14:15], v[80:81]
	v_pk_mul_f32 v[112:113], v[2:3], s[0:1] op_sel_hi:[1,0]
	v_pk_fma_f32 v[52:53], v[52:53], s[18:19], v[42:43] op_sel_hi:[1,0,1]
	v_pk_add_f32 v[4:5], v[112:113], v[4:5] op_sel:[1,0] op_sel_hi:[0,1]
	v_pk_add_f32 v[54:55], v[54:55], v[52:53]
	v_lshlrev_b32_e32 v59, 3, v71
	v_pk_add_f32 v[112:113], v[54:55], v[4:5]
	v_pk_add_f32 v[4:5], v[54:55], v[4:5] neg_lo:[0,1] neg_hi:[0,1]
	v_mov_b32_e32 v54, v112
	v_mov_b32_e32 v55, v5
	v_pk_add_f32 v[0:1], v[0:1], v[44:45] neg_lo:[0,1] neg_hi:[0,1]
	v_mov_b32_e32 v44, v81
	v_mov_b32_e32 v45, v6
	;; [unrolled: 1-line block ×4, first 2 shown]
	ds_write2_b64 v59, v[42:43], v[54:55] offset1:1
	v_pk_add_f32 v[42:43], v[50:51], v[46:47] neg_lo:[0,1] neg_hi:[0,1]
	v_mov_b32_e32 v46, v56
	v_mov_b32_e32 v47, v49
	v_pk_fma_f32 v[44:45], v[0:1], s[12:13], v[44:45] op_sel_hi:[1,0,1] neg_lo:[1,0,1] neg_hi:[1,0,1]
	v_pk_fma_f32 v[0:1], v[0:1], s[12:13], v[6:7] op_sel_hi:[1,0,1] neg_lo:[0,0,1] neg_hi:[0,0,1]
	v_mov_b32_e32 v49, v57
	v_pk_fma_f32 v[46:47], v[42:43], s[8:9], v[46:47] op_sel_hi:[1,0,1] neg_lo:[1,0,1] neg_hi:[1,0,1]
	v_pk_fma_f32 v[44:45], v[2:3], s[0:1], v[44:45] op_sel_hi:[1,0,1]
	v_pk_fma_f32 v[0:1], v[2:3], s[0:1], v[0:1] op_sel_hi:[1,0,1]
	v_pk_fma_f32 v[2:3], v[42:43], s[8:9], v[48:49] op_sel_hi:[1,0,1] neg_lo:[0,0,1] neg_hi:[0,0,1]
	v_pk_add_f32 v[46:47], v[46:47], v[52:53]
	v_pk_add_f32 v[2:3], v[2:3], v[52:53]
	v_pk_add_f32 v[50:51], v[46:47], v[44:45] op_sel:[0,1] op_sel_hi:[1,0]
	v_pk_add_f32 v[44:45], v[46:47], v[44:45] op_sel:[0,1] op_sel_hi:[1,0] neg_lo:[0,1] neg_hi:[0,1]
	v_pk_add_f32 v[6:7], v[2:3], v[0:1] op_sel:[0,1] op_sel_hi:[1,0] neg_lo:[0,1] neg_hi:[0,1]
	v_pk_add_f32 v[0:1], v[2:3], v[0:1] op_sel:[0,1] op_sel_hi:[1,0]
	v_mov_b32_e32 v2, v50
	v_mov_b32_e32 v3, v45
	v_mov_b32_e32 v42, v6
	v_mov_b32_e32 v43, v1
	v_mov_b32_e32 v1, v7
	v_mov_b32_e32 v45, v51
	v_mov_b32_e32 v5, v113
	ds_write2_b64 v59, v[2:3], v[42:43] offset0:2 offset1:3
	ds_write2_b64 v59, v[0:1], v[44:45] offset0:4 offset1:5
	ds_write_b64 v59, v[4:5] offset:48
.LBB0_13:
	s_or_b64 exec, exec, s[22:23]
	s_waitcnt lgkmcnt(0)
	; wave barrier
	s_waitcnt lgkmcnt(0)
	ds_read2_b64 v[4:7], v58 offset1:63
	ds_read2_b64 v[42:45], v58 offset0:126 offset1:189
	v_add_u32_e32 v2, 0x400, v58
	ds_read2_b64 v[46:49], v2 offset0:124 offset1:187
	v_add_u32_e32 v3, 0x800, v58
	s_waitcnt lgkmcnt(2)
	v_pk_mul_f32 v[54:55], v[88:89], v[6:7] op_sel_hi:[0,1]
	v_pk_fma_f32 v[56:57], v[20:21], v[6:7], v[54:55] op_sel:[0,0,1] op_sel_hi:[1,1,0]
	v_pk_fma_f32 v[6:7], v[20:21], v[6:7], v[54:55] op_sel:[0,0,1] op_sel_hi:[0,1,0] neg_lo:[0,0,1] neg_hi:[0,0,1]
	s_waitcnt lgkmcnt(1)
	v_pk_mul_f32 v[20:21], v[86:87], v[42:43] op_sel_hi:[0,1]
	v_pk_fma_f32 v[54:55], v[88:89], v[42:43], v[20:21] op_sel:[1,0,1] op_sel_hi:[1,1,0]
	v_pk_fma_f32 v[20:21], v[88:89], v[42:43], v[20:21] op_sel:[1,0,1] op_sel_hi:[1,1,0] neg_lo:[0,0,1] neg_hi:[0,0,1]
	v_pk_mul_f32 v[42:43], v[16:17], v[44:45] op_sel:[1,0]
	ds_read2_b64 v[50:53], v3 offset0:122 offset1:185
	ds_read_b64 v[0:1], v58 offset:4032
	v_pk_fma_f32 v[80:81], v[16:17], v[44:45], v[42:43] op_sel:[0,0,1] op_sel_hi:[1,1,0]
	v_pk_fma_f32 v[16:17], v[16:17], v[44:45], v[42:43] op_sel:[0,0,1] op_sel_hi:[0,1,0] neg_lo:[0,0,1] neg_hi:[0,0,1]
	v_mov_b32_e32 v81, v17
	s_waitcnt lgkmcnt(2)
	v_pk_mul_f32 v[16:17], v[18:19], v[46:47]
	v_pk_mul_f32 v[12:13], v[12:13], v[48:49]
	v_pk_fma_f32 v[18:19], v[110:111], v[46:47], v[16:17] op_sel:[0,0,1] op_sel_hi:[1,1,0]
	v_pk_fma_f32 v[16:17], v[110:111], v[46:47], v[16:17] op_sel:[0,0,1] op_sel_hi:[1,1,0] neg_lo:[0,0,1] neg_hi:[0,0,1]
	v_mov_b32_e32 v57, v7
	v_mov_b32_e32 v19, v17
	v_pk_fma_f32 v[16:17], v[108:109], v[48:49], v[12:13] op_sel:[0,0,1] op_sel_hi:[1,1,0]
	v_pk_fma_f32 v[12:13], v[108:109], v[48:49], v[12:13] op_sel:[0,0,1] op_sel_hi:[1,1,0] neg_lo:[0,0,1] neg_hi:[0,0,1]
	v_mov_b32_e32 v6, v7
	v_mov_b32_e32 v17, v13
	s_waitcnt lgkmcnt(1)
	v_pk_mul_f32 v[12:13], v[14:15], v[50:51] op_sel:[1,0]
	v_mov_b32_e32 v7, v54
	v_pk_fma_f32 v[42:43], v[14:15], v[50:51], v[12:13] op_sel:[0,0,1] op_sel_hi:[1,1,0]
	v_pk_fma_f32 v[12:13], v[14:15], v[50:51], v[12:13] op_sel:[0,0,1] op_sel_hi:[0,1,0] neg_lo:[0,0,1] neg_hi:[0,0,1]
	v_mov_b32_e32 v43, v13
	v_pk_mul_f32 v[12:13], v[84:85], v[52:53] op_sel_hi:[0,1]
	v_pk_fma_f32 v[14:15], v[8:9], v[52:53], v[12:13] op_sel:[0,0,1] op_sel_hi:[1,1,0]
	v_pk_fma_f32 v[8:9], v[8:9], v[52:53], v[12:13] op_sel:[0,0,1] op_sel_hi:[0,1,0] neg_lo:[0,0,1] neg_hi:[0,0,1]
	s_waitcnt lgkmcnt(0)
	v_pk_mul_f32 v[12:13], v[82:83], v[0:1] op_sel_hi:[0,1]
	v_pk_fma_f32 v[44:45], v[84:85], v[0:1], v[12:13] op_sel:[1,0,1] op_sel_hi:[1,1,0]
	v_pk_fma_f32 v[0:1], v[84:85], v[0:1], v[12:13] op_sel:[1,0,1] op_sel_hi:[1,1,0] neg_lo:[0,0,1] neg_hi:[0,0,1]
	s_mov_b32 s8, 0x3f248dbb
	v_mov_b32_e32 v45, v1
	v_mov_b32_e32 v0, v1
	v_mov_b32_e32 v1, v14
	v_mov_b32_e32 v15, v9
	v_pk_add_f32 v[0:1], v[6:7], v[0:1] neg_lo:[0,1] neg_hi:[0,1]
	v_mov_b32_e32 v6, v21
	v_mov_b32_e32 v7, v56
	;; [unrolled: 1-line block ×4, first 2 shown]
	s_mov_b32 s9, 0x3f7c1c5c
	v_mov_b32_e32 v55, v21
	v_pk_add_f32 v[6:7], v[6:7], v[8:9] neg_lo:[0,1] neg_hi:[0,1]
	s_mov_b32 s12, s9
	s_mov_b32 s13, s8
	v_pk_add_f32 v[46:47], v[54:55], v[14:15]
	v_pk_add_f32 v[8:9], v[80:81], v[42:43] neg_lo:[0,1] neg_hi:[0,1]
	s_mov_b32 s0, 0x3f5db3d7
	v_pk_mul_f32 v[14:15], v[6:7], s[12:13]
	v_pk_add_f32 v[12:13], v[56:57], v[44:45]
	v_pk_mul_f32 v[8:9], v[8:9], s[0:1] op_sel_hi:[1,0]
	v_pk_fma_f32 v[14:15], v[0:1], s[8:9], v[14:15]
	v_pk_add_f32 v[20:21], v[18:19], v[16:17] neg_lo:[0,1] neg_hi:[0,1]
	s_mov_b32 s12, 0x3eaf1d44
	v_pk_add_f32 v[48:49], v[80:81], v[42:43]
	v_pk_add_f32 v[50:51], v[46:47], v[12:13]
	v_pk_add_f32 v[14:15], v[8:9], v[14:15] op_sel:[1,0] op_sel_hi:[0,1]
	v_pk_mul_f32 v[42:43], v[20:21], s[12:13] op_sel_hi:[1,0]
	s_mov_b32 s14, 0x3f441b7d
	v_pk_add_f32 v[52:53], v[48:49], v[50:51]
	v_pk_add_f32 v[14:15], v[42:43], v[14:15] op_sel:[1,0] op_sel_hi:[0,1]
	v_pk_fma_f32 v[42:43], v[12:13], s[14:15], v[4:5] op_sel_hi:[1,0,1]
	s_mov_b32 s16, 0x3e31d0d4
	v_pk_add_f32 v[52:53], v[18:19], v[52:53]
	v_pk_fma_f32 v[42:43], v[46:47], s[16:17], v[42:43] op_sel_hi:[1,0,1]
	v_pk_add_f32 v[52:53], v[16:17], v[52:53]
	v_pk_fma_f32 v[42:43], v[48:49], 0.5, v[42:43] op_sel_hi:[1,0,1] neg_lo:[1,0,0] neg_hi:[1,0,0]
	v_pk_add_f32 v[16:17], v[18:19], v[16:17]
	s_mov_b32 s18, 0x3f708fb2
	v_pk_fma_f32 v[18:19], v[16:17], s[18:19], v[42:43] op_sel_hi:[1,0,1] neg_lo:[1,0,0] neg_hi:[1,0,0]
	v_pk_add_f32 v[52:53], v[52:53], v[4:5]
	v_pk_add_f32 v[42:43], v[18:19], v[14:15] neg_lo:[0,1] neg_hi:[0,1]
	v_pk_add_f32 v[18:19], v[18:19], v[14:15]
	s_nop 0
	v_mov_b32_e32 v43, v19
	; wave barrier
	v_fma_f32 v18, 2.0, v14, v42
	v_fmac_f32_e32 v19, -2.0, v15
	ds_write2_b64 v83, v[52:53], v[42:43] offset1:7
	v_pk_mul_f32 v[14:15], v[20:21], s[8:9] op_sel_hi:[1,0]
	v_mov_b32_e32 v42, v0
	v_mov_b32_e32 v43, v7
	s_mov_b32 s8, s9
	v_pk_fma_f32 v[52:53], v[16:17], s[14:15], v[4:5] op_sel_hi:[1,0,1]
	v_pk_fma_f32 v[14:15], v[42:43], s[8:9], v[14:15] op_sel:[0,0,1] op_sel_hi:[1,0,0] neg_lo:[0,0,1] neg_hi:[0,0,1]
	v_pk_fma_f32 v[52:53], v[12:13], s[16:17], v[52:53] op_sel_hi:[1,0,1]
	v_pk_add_f32 v[14:15], v[14:15], v[8:9] op_sel:[0,1] op_sel_hi:[1,0] neg_lo:[0,1] neg_hi:[0,1]
	v_mov_b32_e32 v44, v6
	v_mov_b32_e32 v45, v1
	v_pk_fma_f32 v[52:53], v[48:49], 0.5, v[52:53] op_sel_hi:[1,0,1] neg_lo:[1,0,0] neg_hi:[1,0,0]
	v_pk_fma_f32 v[14:15], v[44:45], s[12:13], v[14:15] op_sel_hi:[1,0,1]
	v_pk_fma_f32 v[52:53], v[46:47], s[18:19], v[52:53] op_sel_hi:[1,0,1] neg_lo:[1,0,0] neg_hi:[1,0,0]
	v_mov_b32_e32 v56, v7
	v_mov_b32_e32 v57, v0
	v_pk_add_f32 v[54:55], v[52:53], v[14:15] neg_lo:[0,1] neg_hi:[0,1]
	v_pk_add_f32 v[52:53], v[52:53], v[14:15]
	v_pk_add_f32 v[56:57], v[20:21], v[56:57]
	v_mov_b32_e32 v0, v1
	v_mov_b32_e32 v1, v6
	v_fma_f32 v52, 2.0, v14, v54
	v_mov_b32_e32 v55, v53
	v_fmac_f32_e32 v53, -2.0, v15
	v_pk_add_f32 v[14:15], v[48:49], v[4:5]
	v_pk_add_f32 v[0:1], v[56:57], v[0:1] neg_lo:[0,1] neg_hi:[0,1]
	v_pk_add_f32 v[6:7], v[16:17], v[50:51]
	v_pk_mul_f32 v[0:1], v[0:1], s[0:1] op_sel_hi:[1,0]
	v_pk_fma_f32 v[6:7], v[6:7], 0.5, v[14:15] op_sel_hi:[1,0,1] neg_lo:[1,0,0] neg_hi:[1,0,0]
	s_nop 0
	v_pk_add_f32 v[14:15], v[6:7], v[0:1] op_sel:[0,1] op_sel_hi:[1,0] neg_lo:[0,1] neg_hi:[0,1]
	v_pk_add_f32 v[6:7], v[6:7], v[0:1] op_sel:[0,1] op_sel_hi:[1,0]
	s_nop 0
	v_fma_f32 v6, 2.0, v1, v14
	v_mov_b32_e32 v15, v7
	v_fmac_f32_e32 v7, -2.0, v0
	v_pk_fma_f32 v[0:1], v[46:47], s[14:15], v[4:5] op_sel_hi:[1,0,1]
	s_mov_b32 s14, 0xbf248dbb
	v_pk_mul_f32 v[4:5], v[20:21], s[8:9] op_sel_hi:[1,0]
	v_pk_fma_f32 v[0:1], v[16:17], s[16:17], v[0:1] op_sel_hi:[1,0,1]
	v_pk_fma_f32 v[4:5], v[44:45], s[14:15], v[4:5] op_sel:[0,0,1] op_sel_hi:[1,0,0] neg_lo:[0,0,1] neg_hi:[0,0,1]
	v_pk_fma_f32 v[0:1], v[48:49], 0.5, v[0:1] op_sel_hi:[1,0,1] neg_lo:[1,0,0] neg_hi:[1,0,0]
	v_pk_add_f32 v[4:5], v[8:9], v[4:5] op_sel:[1,0] op_sel_hi:[0,1]
	v_pk_fma_f32 v[4:5], v[42:43], s[12:13], v[4:5] op_sel_hi:[1,0,1]
	v_pk_fma_f32 v[0:1], v[12:13], s[18:19], v[0:1] op_sel_hi:[1,0,1] neg_lo:[1,0,0] neg_hi:[1,0,0]
	ds_write2_b64 v83, v[54:55], v[14:15] offset0:14 offset1:21
	v_pk_add_f32 v[8:9], v[0:1], v[4:5] neg_lo:[0,1] neg_hi:[0,1]
	v_pk_add_f32 v[0:1], v[0:1], v[4:5]
	s_nop 0
	v_fma_f32 v0, 2.0, v4, v8
	v_mov_b32_e32 v9, v1
	v_fmac_f32_e32 v1, -2.0, v5
	ds_write2_b64 v83, v[8:9], v[0:1] offset0:28 offset1:35
	ds_write2_b64 v83, v[6:7], v[52:53] offset0:42 offset1:49
	ds_write_b64 v83, v[18:19] offset:448
	s_waitcnt lgkmcnt(0)
	; wave barrier
	s_waitcnt lgkmcnt(0)
	ds_read2_b64 v[4:7], v58 offset0:126 offset1:189
	ds_read2_b64 v[12:15], v58 offset1:63
	ds_read2_b64 v[16:19], v3 offset0:122 offset1:185
	v_mov_b32_e32 v0, s10
	v_mov_b32_e32 v1, s11
	s_waitcnt lgkmcnt(2)
	v_pk_mul_f32 v[8:9], v[22:23], v[6:7]
	s_nop 0
	v_pk_fma_f32 v[20:21], v[102:103], v[6:7], v[8:9] op_sel:[0,0,1] op_sel_hi:[1,1,0]
	v_pk_fma_f32 v[6:7], v[102:103], v[6:7], v[8:9] op_sel:[0,0,1] op_sel_hi:[1,1,0] neg_lo:[0,0,1] neg_hi:[0,0,1]
	s_nop 0
	v_mov_b32_e32 v21, v7
	s_waitcnt lgkmcnt(0)
	v_pk_mul_f32 v[6:7], v[24:25], v[16:17]
	s_nop 0
	v_pk_fma_f32 v[8:9], v[100:101], v[16:17], v[6:7] op_sel:[0,0,1] op_sel_hi:[1,1,0]
	v_pk_fma_f32 v[6:7], v[100:101], v[16:17], v[6:7] op_sel:[0,0,1] op_sel_hi:[1,1,0] neg_lo:[0,0,1] neg_hi:[0,0,1]
	s_nop 0
	v_mov_b32_e32 v9, v7
	v_pk_add_f32 v[6:7], v[12:13], v[20:21]
	s_nop 0
	v_pk_add_f32 v[16:17], v[6:7], v[8:9]
	v_pk_add_f32 v[6:7], v[20:21], v[8:9]
	v_pk_add_f32 v[20:21], v[20:21], v[8:9] neg_lo:[0,1] neg_hi:[0,1]
	v_pk_fma_f32 v[12:13], v[6:7], 0.5, v[12:13] op_sel_hi:[1,0,1] neg_lo:[1,0,0] neg_hi:[1,0,0]
	ds_read2_b64 v[6:9], v2 offset0:124 offset1:187
	v_pk_mul_f32 v[20:21], v[20:21], s[0:1] op_sel_hi:[1,0]
	s_waitcnt lgkmcnt(0)
	v_pk_mul_f32 v[26:27], v[26:27], v[8:9]
	v_pk_add_f32 v[42:43], v[12:13], v[20:21] op_sel:[0,1] op_sel_hi:[1,0] neg_lo:[0,1] neg_hi:[0,1]
	v_pk_add_f32 v[12:13], v[12:13], v[20:21] op_sel:[0,1] op_sel_hi:[1,0]
	ds_read_b64 v[20:21], v58 offset:4032
	v_pk_fma_f32 v[44:45], v[106:107], v[8:9], v[26:27] op_sel:[0,0,1] op_sel_hi:[1,1,0]
	v_pk_fma_f32 v[8:9], v[106:107], v[8:9], v[26:27] op_sel:[0,0,1] op_sel_hi:[1,1,0] neg_lo:[0,0,1] neg_hi:[0,0,1]
	s_waitcnt lgkmcnt(0)
	v_mov_b32_e32 v45, v9
	v_pk_mul_f32 v[8:9], v[28:29], v[20:21]
	; wave barrier
	s_nop 0
	v_pk_fma_f32 v[26:27], v[104:105], v[20:21], v[8:9] op_sel:[0,0,1] op_sel_hi:[1,1,0]
	v_pk_fma_f32 v[8:9], v[104:105], v[20:21], v[8:9] op_sel:[0,0,1] op_sel_hi:[1,1,0] neg_lo:[0,0,1] neg_hi:[0,0,1]
	v_pk_mul_f32 v[20:21], v[22:23], v[6:7]
	v_mov_b32_e32 v27, v9
	v_pk_fma_f32 v[22:23], v[102:103], v[6:7], v[20:21] op_sel:[0,0,1] op_sel_hi:[1,1,0]
	v_pk_fma_f32 v[6:7], v[102:103], v[6:7], v[20:21] op_sel:[0,0,1] op_sel_hi:[1,1,0] neg_lo:[0,0,1] neg_hi:[0,0,1]
	v_pk_add_f32 v[8:9], v[4:5], v[44:45]
	v_mov_b32_e32 v23, v7
	v_pk_mul_f32 v[6:7], v[24:25], v[18:19]
	v_pk_add_f32 v[8:9], v[8:9], v[26:27]
	v_pk_fma_f32 v[20:21], v[100:101], v[18:19], v[6:7] op_sel:[0,0,1] op_sel_hi:[1,1,0]
	v_pk_fma_f32 v[6:7], v[100:101], v[18:19], v[6:7] op_sel:[0,0,1] op_sel_hi:[1,1,0] neg_lo:[0,0,1] neg_hi:[0,0,1]
	s_nop 0
	v_mov_b32_e32 v21, v7
	v_pk_add_f32 v[6:7], v[22:23], v[20:21]
	v_pk_add_f32 v[18:19], v[22:23], v[20:21] neg_lo:[0,1] neg_hi:[0,1]
	v_pk_fma_f32 v[6:7], v[6:7], 0.5, v[14:15] op_sel_hi:[1,0,1] neg_lo:[1,0,0] neg_hi:[1,0,0]
	v_pk_mul_f32 v[18:19], v[18:19], s[0:1] op_sel_hi:[1,0]
	v_pk_add_f32 v[14:15], v[14:15], v[22:23]
	v_pk_add_f32 v[24:25], v[6:7], v[18:19] op_sel:[0,1] op_sel_hi:[1,0]
	v_pk_add_f32 v[6:7], v[6:7], v[18:19] op_sel:[0,1] op_sel_hi:[1,0] neg_lo:[0,1] neg_hi:[0,1]
	v_mov_b32_e32 v18, v42
	v_mov_b32_e32 v19, v13
	;; [unrolled: 1-line block ×3, first 2 shown]
	v_pk_add_f32 v[14:15], v[14:15], v[20:21]
	ds_write2_b64 v58, v[16:17], v[18:19] offset1:63
	ds_write2_b64 v58, v[12:13], v[14:15] offset0:126 offset1:189
	v_mov_b32_e32 v12, v6
	v_mov_b32_e32 v13, v25
	;; [unrolled: 1-line block ×3, first 2 shown]
	v_pk_add_f32 v[6:7], v[44:45], v[26:27]
	ds_write2_b64 v2, v[12:13], v[24:25] offset0:124 offset1:187
	v_pk_fma_f32 v[4:5], v[6:7], 0.5, v[4:5] op_sel_hi:[1,0,1] neg_lo:[1,0,0] neg_hi:[1,0,0]
	v_pk_add_f32 v[6:7], v[44:45], v[26:27] neg_lo:[0,1] neg_hi:[0,1]
	v_mad_u64_u32 v[20:21], s[8:9], s6, v70, 0
	v_pk_mul_f32 v[6:7], v[6:7], s[0:1] op_sel_hi:[1,0]
	s_nop 0
	v_pk_add_f32 v[12:13], v[4:5], v[6:7] op_sel:[0,1] op_sel_hi:[1,0] neg_lo:[0,1] neg_hi:[0,1]
	v_pk_add_f32 v[4:5], v[4:5], v[6:7] op_sel:[0,1] op_sel_hi:[1,0]
	v_mov_b32_e32 v6, v12
	v_mov_b32_e32 v7, v5
	v_add_u32_e32 v5, 0x800, v63
	ds_write2_b64 v5, v[8:9], v[6:7] offset0:122 offset1:185
	v_mov_b32_e32 v5, v13
	ds_write_b64 v63, v[4:5] offset:4032
	s_waitcnt lgkmcnt(0)
	; wave barrier
	s_waitcnt lgkmcnt(0)
	ds_read2_b64 v[4:7], v58 offset0:126 offset1:189
	ds_read2_b64 v[12:15], v58 offset1:63
	ds_read2_b64 v[16:19], v3 offset0:122 offset1:185
	s_waitcnt lgkmcnt(2)
	v_pk_mul_f32 v[8:9], v[38:39], v[6:7]
	s_nop 0
	v_pk_fma_f32 v[22:23], v[98:99], v[6:7], v[8:9] op_sel:[0,0,1] op_sel_hi:[1,1,0]
	v_pk_fma_f32 v[6:7], v[98:99], v[6:7], v[8:9] op_sel:[0,0,1] op_sel_hi:[1,1,0] neg_lo:[0,0,1] neg_hi:[0,0,1]
	s_waitcnt lgkmcnt(0)
	v_pk_mul_f32 v[24:25], v[40:41], v[16:17]
	v_mov_b32_e32 v23, v7
	ds_read2_b64 v[6:9], v2 offset0:124 offset1:187
	v_pk_fma_f32 v[26:27], v[96:97], v[16:17], v[24:25] op_sel:[0,0,1] op_sel_hi:[1,1,0]
	v_pk_fma_f32 v[16:17], v[96:97], v[16:17], v[24:25] op_sel:[0,0,1] op_sel_hi:[1,1,0] neg_lo:[0,0,1] neg_hi:[0,0,1]
	s_waitcnt lgkmcnt(0)
	v_pk_mul_f32 v[24:25], v[34:35], v[6:7]
	s_nop 0
	v_pk_fma_f32 v[28:29], v[94:95], v[6:7], v[24:25] op_sel:[0,0,1] op_sel_hi:[1,1,0]
	v_pk_fma_f32 v[6:7], v[94:95], v[6:7], v[24:25] op_sel:[0,0,1] op_sel_hi:[1,1,0] neg_lo:[0,0,1] neg_hi:[0,0,1]
	v_pk_mul_f32 v[30:31], v[30:31], v[8:9]
	v_mov_b32_e32 v29, v7
	v_pk_mul_f32 v[6:7], v[36:37], v[18:19]
	v_pk_fma_f32 v[34:35], v[90:91], v[8:9], v[30:31] op_sel:[0,0,1] op_sel_hi:[1,1,0]
	v_pk_fma_f32 v[24:25], v[92:93], v[18:19], v[6:7] op_sel:[0,0,1] op_sel_hi:[1,1,0]
	v_pk_fma_f32 v[6:7], v[92:93], v[18:19], v[6:7] op_sel:[0,0,1] op_sel_hi:[1,1,0] neg_lo:[0,0,1] neg_hi:[0,0,1]
	ds_read_b64 v[18:19], v58 offset:4032
	v_pk_fma_f32 v[8:9], v[90:91], v[8:9], v[30:31] op_sel:[0,0,1] op_sel_hi:[1,1,0] neg_lo:[0,0,1] neg_hi:[0,0,1]
	v_mov_b32_e32 v27, v17
	v_mov_b32_e32 v35, v9
	v_pk_add_f32 v[16:17], v[12:13], v[22:23]
	s_waitcnt lgkmcnt(0)
	v_pk_mul_f32 v[8:9], v[32:33], v[18:19]
	v_mov_b32_e32 v25, v7
	v_pk_fma_f32 v[30:31], v[10:11], v[18:19], v[8:9] op_sel:[0,0,1] op_sel_hi:[1,1,0]
	v_pk_fma_f32 v[8:9], v[10:11], v[18:19], v[8:9] op_sel:[0,0,1] op_sel_hi:[1,1,0] neg_lo:[0,0,1] neg_hi:[0,0,1]
	v_pk_add_f32 v[10:11], v[22:23], v[26:27]
	v_pk_add_f32 v[6:7], v[14:15], v[28:29]
	v_pk_fma_f32 v[10:11], v[10:11], 0.5, v[12:13] op_sel_hi:[1,0,1] neg_lo:[1,0,0] neg_hi:[1,0,0]
	v_pk_add_f32 v[12:13], v[22:23], v[26:27] neg_lo:[0,1] neg_hi:[0,1]
	v_pk_add_f32 v[6:7], v[6:7], v[24:25]
	v_pk_mul_f32 v[12:13], v[12:13], s[0:1] op_sel_hi:[1,0]
	v_pk_add_f32 v[16:17], v[16:17], v[26:27]
	v_pk_add_f32 v[18:19], v[10:11], v[12:13] op_sel:[0,1] op_sel_hi:[1,0] neg_lo:[0,1] neg_hi:[0,1]
	v_pk_add_f32 v[10:11], v[10:11], v[12:13] op_sel:[0,1] op_sel_hi:[1,0]
	v_mov_b32_e32 v13, v19
	v_mov_b32_e32 v12, v10
	v_mov_b32_e32 v19, v11
	ds_write_b64 v58, v[12:13] offset:3024
	ds_write_b64 v58, v[18:19] offset:1512
	ds_write2_b64 v58, v[16:17], v[6:7] offset1:63
	v_pk_add_f32 v[6:7], v[28:29], v[24:25]
	v_pk_add_f32 v[10:11], v[28:29], v[24:25] neg_lo:[0,1] neg_hi:[0,1]
	v_pk_fma_f32 v[6:7], v[6:7], 0.5, v[14:15] op_sel_hi:[1,0,1] neg_lo:[1,0,0] neg_hi:[1,0,0]
	v_pk_mul_f32 v[10:11], v[10:11], s[0:1] op_sel_hi:[1,0]
	v_mov_b32_e32 v31, v9
	v_pk_add_f32 v[12:13], v[6:7], v[10:11] op_sel:[0,1] op_sel_hi:[1,0] neg_lo:[0,1] neg_hi:[0,1]
	v_pk_add_f32 v[6:7], v[6:7], v[10:11] op_sel:[0,1] op_sel_hi:[1,0]
	v_mov_b32_e32 v11, v13
	v_mov_b32_e32 v10, v6
	;; [unrolled: 1-line block ×3, first 2 shown]
	v_pk_add_f32 v[6:7], v[34:35], v[30:31]
	v_pk_add_f32 v[8:9], v[4:5], v[34:35]
	v_pk_fma_f32 v[4:5], v[6:7], 0.5, v[4:5] op_sel_hi:[1,0,1] neg_lo:[1,0,0] neg_hi:[1,0,0]
	v_pk_add_f32 v[6:7], v[34:35], v[30:31] neg_lo:[0,1] neg_hi:[0,1]
	v_pk_add_f32 v[8:9], v[8:9], v[30:31]
	v_pk_mul_f32 v[6:7], v[6:7], s[0:1] op_sel_hi:[1,0]
	ds_write_b64 v58, v[8:9] offset:1008
	v_pk_add_f32 v[8:9], v[4:5], v[6:7] op_sel:[0,1] op_sel_hi:[1,0] neg_lo:[0,1] neg_hi:[0,1]
	v_pk_add_f32 v[4:5], v[4:5], v[6:7] op_sel:[0,1] op_sel_hi:[1,0]
	v_mov_b32_e32 v6, v8
	v_mov_b32_e32 v7, v5
	;; [unrolled: 1-line block ×3, first 2 shown]
	ds_write_b64 v58, v[10:11] offset:3528
	ds_write2_b64 v2, v[12:13], v[6:7] offset0:124 offset1:187
	ds_write_b64 v58, v[4:5] offset:4032
	s_waitcnt lgkmcnt(0)
	; wave barrier
	s_waitcnt lgkmcnt(0)
	ds_read2_b64 v[4:7], v58 offset1:81
	v_mov_b32_e32 v8, v21
	v_mad_u64_u32 v[8:9], s[0:1], s7, v70, v[8:9]
	v_mov_b32_e32 v21, v8
	s_waitcnt lgkmcnt(0)
	v_mul_f32_e32 v8, v79, v5
	v_fmac_f32_e32 v8, v78, v4
	v_mul_f32_e32 v4, v79, v4
	s_mov_b32 s0, 0x8eac7900
	v_fma_f32 v4, v78, v5, -v4
	v_cvt_f64_f32_e32 v[8:9], v8
	s_mov_b32 s1, 0x3f5ce55c
	v_cvt_f64_f32_e32 v[4:5], v4
	v_mul_f64 v[8:9], v[8:9], s[0:1]
	v_mul_f64 v[4:5], v[4:5], s[0:1]
	v_cvt_f32_f64_e32 v8, v[8:9]
	v_cvt_f32_f64_e32 v9, v[4:5]
	v_mad_u64_u32 v[4:5], s[6:7], s4, v62, 0
	v_mov_b32_e32 v10, v5
	v_mad_u64_u32 v[10:11], s[6:7], s5, v62, v[10:11]
	v_mov_b32_e32 v5, v10
	v_lshl_add_u64 v[0:1], v[20:21], 3, v[0:1]
	v_lshl_add_u64 v[0:1], v[4:5], 3, v[0:1]
	v_mul_f32_e32 v4, v77, v7
	v_fmac_f32_e32 v4, v76, v6
	v_cvt_f64_f32_e32 v[4:5], v4
	v_mul_f64 v[4:5], v[4:5], s[0:1]
	global_store_dwordx2 v[0:1], v[8:9], off
	v_cvt_f32_f64_e32 v8, v[4:5]
	v_mul_f32_e32 v4, v77, v6
	v_fma_f32 v4, v76, v7, -v4
	v_cvt_f64_f32_e32 v[4:5], v4
	v_mul_f64 v[4:5], v[4:5], s[0:1]
	v_cvt_f32_f64_e32 v9, v[4:5]
	ds_read2_b64 v[4:7], v58 offset0:162 offset1:243
	s_mul_i32 s6, s5, 0x51
	s_mul_hi_u32 s7, s4, 0x51
	s_add_i32 s7, s7, s6
	s_mul_i32 s6, s4, 0x51
	s_lshl_b64 s[6:7], s[6:7], 3
	v_lshl_add_u64 v[0:1], v[0:1], 0, s[6:7]
	global_store_dwordx2 v[0:1], v[8:9], off
	s_waitcnt lgkmcnt(0)
	v_mul_f32_e32 v8, v75, v5
	v_fmac_f32_e32 v8, v74, v4
	v_mul_f32_e32 v4, v75, v4
	v_fma_f32 v4, v74, v5, -v4
	v_cvt_f64_f32_e32 v[8:9], v8
	v_cvt_f64_f32_e32 v[4:5], v4
	v_mul_f64 v[8:9], v[8:9], s[0:1]
	v_mul_f64 v[4:5], v[4:5], s[0:1]
	v_cvt_f32_f64_e32 v8, v[8:9]
	v_cvt_f32_f64_e32 v9, v[4:5]
	v_mul_f32_e32 v4, v73, v7
	v_fmac_f32_e32 v4, v72, v6
	v_cvt_f64_f32_e32 v[4:5], v4
	v_lshl_add_u64 v[0:1], v[0:1], 0, s[6:7]
	v_mul_f64 v[4:5], v[4:5], s[0:1]
	global_store_dwordx2 v[0:1], v[8:9], off
	v_cvt_f32_f64_e32 v8, v[4:5]
	v_mul_f32_e32 v4, v73, v6
	v_fma_f32 v4, v72, v7, -v4
	v_cvt_f64_f32_e32 v[10:11], v4
	ds_read2_b64 v[4:7], v3 offset0:68 offset1:149
	v_mul_f64 v[10:11], v[10:11], s[0:1]
	v_cvt_f32_f64_e32 v9, v[10:11]
	v_lshl_add_u64 v[0:1], v[0:1], 0, s[6:7]
	global_store_dwordx2 v[0:1], v[8:9], off
	s_waitcnt lgkmcnt(0)
	v_mul_f32_e32 v8, v69, v5
	v_fmac_f32_e32 v8, v68, v4
	v_mul_f32_e32 v4, v69, v4
	v_fma_f32 v4, v68, v5, -v4
	v_cvt_f64_f32_e32 v[8:9], v8
	v_cvt_f64_f32_e32 v[4:5], v4
	v_mul_f64 v[8:9], v[8:9], s[0:1]
	v_mul_f64 v[4:5], v[4:5], s[0:1]
	v_cvt_f32_f64_e32 v8, v[8:9]
	v_cvt_f32_f64_e32 v9, v[4:5]
	v_mul_f32_e32 v4, v67, v7
	v_fmac_f32_e32 v4, v66, v6
	v_cvt_f64_f32_e32 v[4:5], v4
	v_lshl_add_u64 v[0:1], v[0:1], 0, s[6:7]
	v_mul_f64 v[4:5], v[4:5], s[0:1]
	global_store_dwordx2 v[0:1], v[8:9], off
	v_cvt_f32_f64_e32 v4, v[4:5]
	v_mul_f32_e32 v5, v67, v6
	ds_read_b64 v[8:9], v58 offset:3888
	v_fma_f32 v5, v66, v7, -v5
	v_cvt_f64_f32_e32 v[6:7], v5
	v_mul_f64 v[6:7], v[6:7], s[0:1]
	v_cvt_f32_f64_e32 v5, v[6:7]
	v_lshl_add_u64 v[0:1], v[0:1], 0, s[6:7]
	global_store_dwordx2 v[0:1], v[4:5], off
	s_waitcnt lgkmcnt(0)
	v_mul_f32_e32 v4, v65, v9
	v_fmac_f32_e32 v4, v64, v8
	v_cvt_f64_f32_e32 v[4:5], v4
	v_mul_f64 v[4:5], v[4:5], s[0:1]
	v_cvt_f32_f64_e32 v4, v[4:5]
	v_mul_f32_e32 v5, v65, v8
	v_fma_f32 v5, v64, v9, -v5
	v_cvt_f64_f32_e32 v[6:7], v5
	v_mul_f64 v[6:7], v[6:7], s[0:1]
	v_cvt_f32_f64_e32 v5, v[6:7]
	v_lshl_add_u64 v[0:1], v[0:1], 0, s[6:7]
	global_store_dwordx2 v[0:1], v[4:5], off
	s_and_b64 exec, exec, s[2:3]
	s_cbranch_execz .LBB0_15
; %bb.14:
	global_load_dwordx2 v[16:17], v[60:61], off offset:504
	global_load_dwordx2 v[18:19], v[60:61], off offset:1152
	;; [unrolled: 1-line block ×5, first 2 shown]
	ds_read2_b64 v[4:7], v58 offset0:63 offset1:144
	ds_read2_b64 v[8:11], v2 offset0:97 offset1:178
	;; [unrolled: 1-line block ×3, first 2 shown]
	v_mov_b32_e32 v26, 0xfffff2c8
	s_mulk_i32 s5, 0xf2c8
	v_mad_u64_u32 v[0:1], s[2:3], s4, v26, v[0:1]
	s_sub_i32 s2, s5, s4
	s_nop 0
	v_add_u32_e32 v1, s2, v1
	v_lshl_add_u64 v[2:3], v[0:1], 0, s[6:7]
	v_lshl_add_u64 v[26:27], v[2:3], 0, s[6:7]
	;; [unrolled: 1-line block ×4, first 2 shown]
	s_movk_i32 s2, 0x1000
	s_waitcnt vmcnt(4) lgkmcnt(2)
	v_mul_f32_e32 v32, v5, v17
	v_mul_f32_e32 v17, v4, v17
	s_waitcnt vmcnt(3)
	v_mul_f32_e32 v33, v7, v19
	v_mul_f32_e32 v19, v6, v19
	s_waitcnt vmcnt(2) lgkmcnt(1)
	v_mul_f32_e32 v34, v9, v21
	v_mul_f32_e32 v21, v8, v21
	s_waitcnt vmcnt(1)
	v_mul_f32_e32 v35, v11, v23
	v_mul_f32_e32 v23, v10, v23
	s_waitcnt vmcnt(0) lgkmcnt(0)
	v_mul_f32_e32 v36, v13, v25
	v_mul_f32_e32 v25, v12, v25
	v_fmac_f32_e32 v32, v4, v16
	v_fma_f32 v16, v16, v5, -v17
	v_fmac_f32_e32 v33, v6, v18
	v_fma_f32 v17, v18, v7, -v19
	;; [unrolled: 2-line block ×5, first 2 shown]
	v_cvt_f64_f32_e32 v[4:5], v32
	v_cvt_f64_f32_e32 v[6:7], v16
	;; [unrolled: 1-line block ×10, first 2 shown]
	v_mul_f64 v[4:5], v[4:5], s[0:1]
	v_mul_f64 v[6:7], v[6:7], s[0:1]
	v_mul_f64 v[8:9], v[8:9], s[0:1]
	v_mul_f64 v[10:11], v[10:11], s[0:1]
	v_mul_f64 v[12:13], v[12:13], s[0:1]
	v_mul_f64 v[16:17], v[16:17], s[0:1]
	v_mul_f64 v[18:19], v[18:19], s[0:1]
	v_mul_f64 v[20:21], v[20:21], s[0:1]
	v_mul_f64 v[22:23], v[22:23], s[0:1]
	v_mul_f64 v[24:25], v[24:25], s[0:1]
	v_cvt_f32_f64_e32 v4, v[4:5]
	v_cvt_f32_f64_e32 v5, v[6:7]
	;; [unrolled: 1-line block ×10, first 2 shown]
	global_store_dwordx2 v[0:1], v[4:5], off
	global_store_dwordx2 v[2:3], v[6:7], off
	;; [unrolled: 1-line block ×5, first 2 shown]
	global_load_dwordx2 v[0:1], v[60:61], off offset:3744
	v_add_co_u32_e32 v2, vcc, s2, v60
	v_lshl_add_u64 v[4:5], v[30:31], 0, s[6:7]
	s_nop 0
	v_addc_co_u32_e32 v3, vcc, 0, v61, vcc
	s_waitcnt vmcnt(0)
	v_mul_f32_e32 v6, v15, v1
	v_mul_f32_e32 v1, v14, v1
	v_fmac_f32_e32 v6, v14, v0
	v_fma_f32 v7, v0, v15, -v1
	v_cvt_f64_f32_e32 v[0:1], v6
	v_cvt_f64_f32_e32 v[6:7], v7
	v_mul_f64 v[0:1], v[0:1], s[0:1]
	v_mul_f64 v[6:7], v[6:7], s[0:1]
	v_cvt_f32_f64_e32 v0, v[0:1]
	v_cvt_f32_f64_e32 v1, v[6:7]
	global_store_dwordx2 v[4:5], v[0:1], off
	global_load_dwordx2 v[0:1], v[2:3], off offset:296
	ds_read_b64 v[2:3], v58 offset:4392
	s_waitcnt vmcnt(0) lgkmcnt(0)
	v_mul_f32_e32 v6, v3, v1
	v_mul_f32_e32 v1, v2, v1
	v_fmac_f32_e32 v6, v2, v0
	v_fma_f32 v2, v0, v3, -v1
	v_cvt_f64_f32_e32 v[0:1], v6
	v_cvt_f64_f32_e32 v[2:3], v2
	v_mul_f64 v[0:1], v[0:1], s[0:1]
	v_mul_f64 v[2:3], v[2:3], s[0:1]
	v_cvt_f32_f64_e32 v0, v[0:1]
	v_cvt_f32_f64_e32 v1, v[2:3]
	v_lshl_add_u64 v[2:3], v[4:5], 0, s[6:7]
	global_store_dwordx2 v[2:3], v[0:1], off
.LBB0_15:
	s_endpgm
	.section	.rodata,"a",@progbits
	.p2align	6, 0x0
	.amdhsa_kernel bluestein_single_fwd_len567_dim1_sp_op_CI_CI
		.amdhsa_group_segment_fixed_size 4536
		.amdhsa_private_segment_fixed_size 0
		.amdhsa_kernarg_size 104
		.amdhsa_user_sgpr_count 2
		.amdhsa_user_sgpr_dispatch_ptr 0
		.amdhsa_user_sgpr_queue_ptr 0
		.amdhsa_user_sgpr_kernarg_segment_ptr 1
		.amdhsa_user_sgpr_dispatch_id 0
		.amdhsa_user_sgpr_kernarg_preload_length 0
		.amdhsa_user_sgpr_kernarg_preload_offset 0
		.amdhsa_user_sgpr_private_segment_size 0
		.amdhsa_uses_dynamic_stack 0
		.amdhsa_enable_private_segment 0
		.amdhsa_system_sgpr_workgroup_id_x 1
		.amdhsa_system_sgpr_workgroup_id_y 0
		.amdhsa_system_sgpr_workgroup_id_z 0
		.amdhsa_system_sgpr_workgroup_info 0
		.amdhsa_system_vgpr_workitem_id 0
		.amdhsa_next_free_vgpr 128
		.amdhsa_next_free_sgpr 28
		.amdhsa_accum_offset 128
		.amdhsa_reserve_vcc 1
		.amdhsa_float_round_mode_32 0
		.amdhsa_float_round_mode_16_64 0
		.amdhsa_float_denorm_mode_32 3
		.amdhsa_float_denorm_mode_16_64 3
		.amdhsa_dx10_clamp 1
		.amdhsa_ieee_mode 1
		.amdhsa_fp16_overflow 0
		.amdhsa_tg_split 0
		.amdhsa_exception_fp_ieee_invalid_op 0
		.amdhsa_exception_fp_denorm_src 0
		.amdhsa_exception_fp_ieee_div_zero 0
		.amdhsa_exception_fp_ieee_overflow 0
		.amdhsa_exception_fp_ieee_underflow 0
		.amdhsa_exception_fp_ieee_inexact 0
		.amdhsa_exception_int_div_zero 0
	.end_amdhsa_kernel
	.text
.Lfunc_end0:
	.size	bluestein_single_fwd_len567_dim1_sp_op_CI_CI, .Lfunc_end0-bluestein_single_fwd_len567_dim1_sp_op_CI_CI
                                        ; -- End function
	.section	.AMDGPU.csdata,"",@progbits
; Kernel info:
; codeLenInByte = 9980
; NumSgprs: 34
; NumVgprs: 128
; NumAgprs: 0
; TotalNumVgprs: 128
; ScratchSize: 0
; MemoryBound: 0
; FloatMode: 240
; IeeeMode: 1
; LDSByteSize: 4536 bytes/workgroup (compile time only)
; SGPRBlocks: 4
; VGPRBlocks: 15
; NumSGPRsForWavesPerEU: 34
; NumVGPRsForWavesPerEU: 128
; AccumOffset: 128
; Occupancy: 4
; WaveLimiterHint : 1
; COMPUTE_PGM_RSRC2:SCRATCH_EN: 0
; COMPUTE_PGM_RSRC2:USER_SGPR: 2
; COMPUTE_PGM_RSRC2:TRAP_HANDLER: 0
; COMPUTE_PGM_RSRC2:TGID_X_EN: 1
; COMPUTE_PGM_RSRC2:TGID_Y_EN: 0
; COMPUTE_PGM_RSRC2:TGID_Z_EN: 0
; COMPUTE_PGM_RSRC2:TIDIG_COMP_CNT: 0
; COMPUTE_PGM_RSRC3_GFX90A:ACCUM_OFFSET: 31
; COMPUTE_PGM_RSRC3_GFX90A:TG_SPLIT: 0
	.text
	.p2alignl 6, 3212836864
	.fill 256, 4, 3212836864
	.type	__hip_cuid_c51211212fc7f7d8,@object ; @__hip_cuid_c51211212fc7f7d8
	.section	.bss,"aw",@nobits
	.globl	__hip_cuid_c51211212fc7f7d8
__hip_cuid_c51211212fc7f7d8:
	.byte	0                               ; 0x0
	.size	__hip_cuid_c51211212fc7f7d8, 1

	.ident	"AMD clang version 19.0.0git (https://github.com/RadeonOpenCompute/llvm-project roc-6.4.0 25133 c7fe45cf4b819c5991fe208aaa96edf142730f1d)"
	.section	".note.GNU-stack","",@progbits
	.addrsig
	.addrsig_sym __hip_cuid_c51211212fc7f7d8
	.amdgpu_metadata
---
amdhsa.kernels:
  - .agpr_count:     0
    .args:
      - .actual_access:  read_only
        .address_space:  global
        .offset:         0
        .size:           8
        .value_kind:     global_buffer
      - .actual_access:  read_only
        .address_space:  global
        .offset:         8
        .size:           8
        .value_kind:     global_buffer
      - .actual_access:  read_only
        .address_space:  global
        .offset:         16
        .size:           8
        .value_kind:     global_buffer
      - .actual_access:  read_only
        .address_space:  global
        .offset:         24
        .size:           8
        .value_kind:     global_buffer
      - .actual_access:  read_only
        .address_space:  global
        .offset:         32
        .size:           8
        .value_kind:     global_buffer
      - .offset:         40
        .size:           8
        .value_kind:     by_value
      - .address_space:  global
        .offset:         48
        .size:           8
        .value_kind:     global_buffer
      - .address_space:  global
        .offset:         56
        .size:           8
        .value_kind:     global_buffer
      - .address_space:  global
        .offset:         64
        .size:           8
        .value_kind:     global_buffer
      - .address_space:  global
        .offset:         72
        .size:           8
        .value_kind:     global_buffer
      - .offset:         80
        .size:           4
        .value_kind:     by_value
      - .address_space:  global
        .offset:         88
        .size:           8
        .value_kind:     global_buffer
      - .address_space:  global
        .offset:         96
        .size:           8
        .value_kind:     global_buffer
    .group_segment_fixed_size: 4536
    .kernarg_segment_align: 8
    .kernarg_segment_size: 104
    .language:       OpenCL C
    .language_version:
      - 2
      - 0
    .max_flat_workgroup_size: 63
    .name:           bluestein_single_fwd_len567_dim1_sp_op_CI_CI
    .private_segment_fixed_size: 0
    .sgpr_count:     34
    .sgpr_spill_count: 0
    .symbol:         bluestein_single_fwd_len567_dim1_sp_op_CI_CI.kd
    .uniform_work_group_size: 1
    .uses_dynamic_stack: false
    .vgpr_count:     128
    .vgpr_spill_count: 0
    .wavefront_size: 64
amdhsa.target:   amdgcn-amd-amdhsa--gfx950
amdhsa.version:
  - 1
  - 2
...

	.end_amdgpu_metadata
